;; amdgpu-corpus repo=ROCm/rocBLAS kind=compiled arch=gfx1250 opt=O3
	.amdgcn_target "amdgcn-amd-amdhsa--gfx1250"
	.amdhsa_code_object_version 6
	.section	.text._ZL25rocblas_symm_scale_kernelILi128ELi8EPKfPfEviiT1_T2_llli,"axG",@progbits,_ZL25rocblas_symm_scale_kernelILi128ELi8EPKfPfEviiT1_T2_llli,comdat
	.globl	_ZL25rocblas_symm_scale_kernelILi128ELi8EPKfPfEviiT1_T2_llli ; -- Begin function _ZL25rocblas_symm_scale_kernelILi128ELi8EPKfPfEviiT1_T2_llli
	.p2align	8
	.type	_ZL25rocblas_symm_scale_kernelILi128ELi8EPKfPfEviiT1_T2_llli,@function
_ZL25rocblas_symm_scale_kernelILi128ELi8EPKfPfEviiT1_T2_llli: ; @_ZL25rocblas_symm_scale_kernelILi128ELi8EPKfPfEviiT1_T2_llli
; %bb.0:
	s_load_b256 s[4:11], s[0:1], 0x8
	s_wait_kmcnt 0x0
	s_load_b32 s12, s[4:5], 0x0
	s_wait_kmcnt 0x0
	s_cmp_eq_f32 s12, 1.0
	s_cbranch_scc1 .LBB0_10
; %bb.1:
	s_load_b32 s13, s[0:1], 0x30
	s_bfe_u32 s2, ttmp6, 0x40014
	s_lshr_b32 s3, ttmp7, 16
	s_add_co_i32 s2, s2, 1
	s_bfe_u32 s5, ttmp6, 0x40008
	s_mul_i32 s4, s3, s2
	s_getreg_b32 s2, hwreg(HW_REG_IB_STS2, 6, 4)
	s_add_co_i32 s5, s5, s4
	s_cmp_eq_u32 s2, 0
	s_cselect_b32 s14, s3, s5
	s_mov_b32 s3, 0
	s_wait_kmcnt 0x0
	s_cmp_ge_u32 s14, s13
	s_cbranch_scc1 .LBB0_10
; %bb.2:
	s_bfe_u32 s4, ttmp6, 0x40010
	s_bfe_u32 s15, ttmp6, 0x4000c
	s_and_b32 s5, ttmp7, 0xffff
	s_add_co_i32 s4, s4, 1
	s_add_co_i32 s15, s15, 1
	s_mul_i32 s4, s5, s4
	s_bfe_u32 s16, ttmp6, 0x40004
	s_and_b32 s17, ttmp6, 15
	s_mul_i32 s15, ttmp9, s15
	s_add_co_i32 s16, s16, s4
	s_add_co_i32 s4, s17, s15
	v_bfe_u32 v1, v0, 10, 10
	s_cmp_eq_u32 s2, 0
	v_mov_b32_e32 v3, 0
	s_cselect_b32 s2, s5, s16
	s_clause 0x1
	s_load_b64 s[16:17], s[0:1], 0x0
	s_load_b64 s[18:19], s[0:1], 0x28
	v_lshl_add_u32 v2, s2, 3, v1
	v_and_b32_e32 v0, 0x3ff, v0
	s_cselect_b32 s2, ttmp9, s4
	v_mov_b32_e32 v1, v3
	s_wait_xcnt 0x0
	s_add_nc_u64 s[0:1], s[0:1], 56
	v_mul_u64_e32 v[4:5], s[10:11], v[2:3]
	v_lshl_add_u32 v0, s2, 7, v0
	s_wait_kmcnt 0x0
	s_ashr_i32 s5, s17, 31
	s_mov_b32 s4, s17
	s_delay_alu instid0(VALU_DEP_1)
	v_cmp_gt_u32_e64 s2, s16, v0
	v_cmp_gt_i64_e32 vcc_lo, s[4:5], v[2:3]
	s_and_b32 s15, s2, vcc_lo
	s_cmp_neq_f32 s12, 0
	s_cselect_b32 s16, -1, 0
	s_lshl_b64 s[8:9], s[8:9], 2
	s_delay_alu instid0(SALU_CYCLE_1) | instskip(SKIP_1) | instid1(VALU_DEP_1)
	v_lshl_add_u64 v[4:5], v[4:5], 2, s[8:9]
	s_lshl_b64 s[8:9], s[10:11], 2
	v_lshl_add_u64 v[0:1], v[0:1], 2, v[4:5]
	s_delay_alu instid0(VALU_DEP_1)
	v_add_nc_u64_e32 v[0:1], s[6:7], v[0:1]
	s_lshl_b64 s[6:7], s[18:19], 2
	s_branch .LBB0_4
.LBB0_3:                                ;   in Loop: Header=BB0_4 Depth=1
	s_or_b32 exec_lo, exec_lo, s17
	s_add_co_i32 s14, s14, 0x10000
	s_delay_alu instid0(SALU_CYCLE_1)
	s_cmp_lt_u32 s14, s13
	s_cbranch_scc0 .LBB0_10
.LBB0_4:                                ; =>This Loop Header: Depth=1
                                        ;     Child Loop BB0_8 Depth 2
	s_and_saveexec_b32 s17, s15
	s_cbranch_execz .LBB0_3
; %bb.5:                                ;   in Loop: Header=BB0_4 Depth=1
	s_load_b32 s2, s[0:1], 0x4
	s_delay_alu instid0(VALU_DEP_1) | instskip(SKIP_2) | instid1(VALU_DEP_2)
	v_mad_nc_u64_u32 v[4:5], s6, s14, v[0:1]
	v_mov_b64_e32 v[6:7], v[2:3]
	s_mov_b32 s18, 0
	v_mad_u32 v5, s7, s14, v5
	s_wait_kmcnt 0x0
	s_lshl_b32 s2, s2, 3
	s_delay_alu instid0(SALU_CYCLE_1)
	s_mul_u64 s[10:11], s[8:9], s[2:3]
	s_branch .LBB0_8
.LBB0_6:                                ;   in Loop: Header=BB0_8 Depth=2
	global_load_b32 v8, v[4:5], off
	s_wait_loadcnt 0x0
	v_mul_f32_e32 v8, s12, v8
.LBB0_7:                                ;   in Loop: Header=BB0_8 Depth=2
	v_add_nc_u64_e32 v[6:7], s[2:3], v[6:7]
	global_store_b32 v[4:5], v8, off
	s_wait_xcnt 0x0
	v_add_nc_u64_e32 v[4:5], s[10:11], v[4:5]
	v_cmp_le_i64_e32 vcc_lo, s[4:5], v[6:7]
	s_or_b32 s18, vcc_lo, s18
	s_delay_alu instid0(SALU_CYCLE_1)
	s_and_not1_b32 exec_lo, exec_lo, s18
	s_cbranch_execz .LBB0_3
.LBB0_8:                                ;   Parent Loop BB0_4 Depth=1
                                        ; =>  This Inner Loop Header: Depth=2
	s_and_not1_b32 vcc_lo, exec_lo, s16
	s_cbranch_vccz .LBB0_6
; %bb.9:                                ;   in Loop: Header=BB0_8 Depth=2
	v_mov_b32_e32 v8, 0
	s_branch .LBB0_7
.LBB0_10:
	s_endpgm
	.section	.rodata,"a",@progbits
	.p2align	6, 0x0
	.amdhsa_kernel _ZL25rocblas_symm_scale_kernelILi128ELi8EPKfPfEviiT1_T2_llli
		.amdhsa_group_segment_fixed_size 0
		.amdhsa_private_segment_fixed_size 0
		.amdhsa_kernarg_size 312
		.amdhsa_user_sgpr_count 2
		.amdhsa_user_sgpr_dispatch_ptr 0
		.amdhsa_user_sgpr_queue_ptr 0
		.amdhsa_user_sgpr_kernarg_segment_ptr 1
		.amdhsa_user_sgpr_dispatch_id 0
		.amdhsa_user_sgpr_kernarg_preload_length 0
		.amdhsa_user_sgpr_kernarg_preload_offset 0
		.amdhsa_user_sgpr_private_segment_size 0
		.amdhsa_wavefront_size32 1
		.amdhsa_uses_dynamic_stack 0
		.amdhsa_enable_private_segment 0
		.amdhsa_system_sgpr_workgroup_id_x 1
		.amdhsa_system_sgpr_workgroup_id_y 1
		.amdhsa_system_sgpr_workgroup_id_z 1
		.amdhsa_system_sgpr_workgroup_info 0
		.amdhsa_system_vgpr_workitem_id 1
		.amdhsa_next_free_vgpr 9
		.amdhsa_next_free_sgpr 20
		.amdhsa_named_barrier_count 0
		.amdhsa_reserve_vcc 1
		.amdhsa_float_round_mode_32 0
		.amdhsa_float_round_mode_16_64 0
		.amdhsa_float_denorm_mode_32 3
		.amdhsa_float_denorm_mode_16_64 3
		.amdhsa_fp16_overflow 0
		.amdhsa_memory_ordered 1
		.amdhsa_forward_progress 1
		.amdhsa_inst_pref_size 4
		.amdhsa_round_robin_scheduling 0
		.amdhsa_exception_fp_ieee_invalid_op 0
		.amdhsa_exception_fp_denorm_src 0
		.amdhsa_exception_fp_ieee_div_zero 0
		.amdhsa_exception_fp_ieee_overflow 0
		.amdhsa_exception_fp_ieee_underflow 0
		.amdhsa_exception_fp_ieee_inexact 0
		.amdhsa_exception_int_div_zero 0
	.end_amdhsa_kernel
	.section	.text._ZL25rocblas_symm_scale_kernelILi128ELi8EPKfPfEviiT1_T2_llli,"axG",@progbits,_ZL25rocblas_symm_scale_kernelILi128ELi8EPKfPfEviiT1_T2_llli,comdat
.Lfunc_end0:
	.size	_ZL25rocblas_symm_scale_kernelILi128ELi8EPKfPfEviiT1_T2_llli, .Lfunc_end0-_ZL25rocblas_symm_scale_kernelILi128ELi8EPKfPfEviiT1_T2_llli
                                        ; -- End function
	.set _ZL25rocblas_symm_scale_kernelILi128ELi8EPKfPfEviiT1_T2_llli.num_vgpr, 9
	.set _ZL25rocblas_symm_scale_kernelILi128ELi8EPKfPfEviiT1_T2_llli.num_agpr, 0
	.set _ZL25rocblas_symm_scale_kernelILi128ELi8EPKfPfEviiT1_T2_llli.numbered_sgpr, 20
	.set _ZL25rocblas_symm_scale_kernelILi128ELi8EPKfPfEviiT1_T2_llli.num_named_barrier, 0
	.set _ZL25rocblas_symm_scale_kernelILi128ELi8EPKfPfEviiT1_T2_llli.private_seg_size, 0
	.set _ZL25rocblas_symm_scale_kernelILi128ELi8EPKfPfEviiT1_T2_llli.uses_vcc, 1
	.set _ZL25rocblas_symm_scale_kernelILi128ELi8EPKfPfEviiT1_T2_llli.uses_flat_scratch, 0
	.set _ZL25rocblas_symm_scale_kernelILi128ELi8EPKfPfEviiT1_T2_llli.has_dyn_sized_stack, 0
	.set _ZL25rocblas_symm_scale_kernelILi128ELi8EPKfPfEviiT1_T2_llli.has_recursion, 0
	.set _ZL25rocblas_symm_scale_kernelILi128ELi8EPKfPfEviiT1_T2_llli.has_indirect_call, 0
	.section	.AMDGPU.csdata,"",@progbits
; Kernel info:
; codeLenInByte = 500
; TotalNumSgprs: 22
; NumVgprs: 9
; ScratchSize: 0
; MemoryBound: 0
; FloatMode: 240
; IeeeMode: 1
; LDSByteSize: 0 bytes/workgroup (compile time only)
; SGPRBlocks: 0
; VGPRBlocks: 0
; NumSGPRsForWavesPerEU: 22
; NumVGPRsForWavesPerEU: 9
; NamedBarCnt: 0
; Occupancy: 16
; WaveLimiterHint : 0
; COMPUTE_PGM_RSRC2:SCRATCH_EN: 0
; COMPUTE_PGM_RSRC2:USER_SGPR: 2
; COMPUTE_PGM_RSRC2:TRAP_HANDLER: 0
; COMPUTE_PGM_RSRC2:TGID_X_EN: 1
; COMPUTE_PGM_RSRC2:TGID_Y_EN: 1
; COMPUTE_PGM_RSRC2:TGID_Z_EN: 1
; COMPUTE_PGM_RSRC2:TIDIG_COMP_CNT: 1
	.section	.text._ZL24rocblas_symm_hemm_kernelILb0ELb0ELi32EPKfS1_PfEvbiiT2_T3_lllS4_lllT4_llli,"axG",@progbits,_ZL24rocblas_symm_hemm_kernelILb0ELb0ELi32EPKfS1_PfEvbiiT2_T3_lllS4_lllT4_llli,comdat
	.globl	_ZL24rocblas_symm_hemm_kernelILb0ELb0ELi32EPKfS1_PfEvbiiT2_T3_lllS4_lllT4_llli ; -- Begin function _ZL24rocblas_symm_hemm_kernelILb0ELb0ELi32EPKfS1_PfEvbiiT2_T3_lllS4_lllT4_llli
	.p2align	8
	.type	_ZL24rocblas_symm_hemm_kernelILb0ELb0ELi32EPKfS1_PfEvbiiT2_T3_lllS4_lllT4_llli,@function
_ZL24rocblas_symm_hemm_kernelILb0ELb0ELi32EPKfS1_PfEvbiiT2_T3_lllS4_lllT4_llli: ; @_ZL24rocblas_symm_hemm_kernelILb0ELb0ELi32EPKfS1_PfEvbiiT2_T3_lllS4_lllT4_llli
; %bb.0:
	s_load_b512 s[4:19], s[0:1], 0x10
	s_wait_kmcnt 0x0
	s_load_b32 s31, s[4:5], 0x0
	s_wait_kmcnt 0x0
	s_cmp_eq_f32 s31, 0
	s_cbranch_scc1 .LBB1_16
; %bb.1:
	s_load_b32 s33, s[0:1], 0x78
	s_bfe_u32 s2, ttmp6, 0x40014
	s_lshr_b32 s4, ttmp7, 16
	s_add_co_i32 s2, s2, 1
	s_bfe_u32 s5, ttmp6, 0x40008
	s_mul_i32 s2, s4, s2
	s_getreg_b32 s3, hwreg(HW_REG_IB_STS2, 6, 4)
	s_add_co_i32 s5, s5, s2
	s_cmp_eq_u32 s3, 0
	s_cselect_b32 s4, s4, s5
	s_wait_kmcnt 0x0
	s_cmp_ge_u32 s4, s33
	s_cbranch_scc1 .LBB1_16
; %bb.2:
	s_clause 0x1
	s_load_b96 s[28:30], s[0:1], 0x0
	s_load_b256 s[20:27], s[0:1], 0x50
	s_lshl_b64 s[34:35], s[8:9], 2
	s_lshl_b64 s[16:17], s[16:17], 2
	s_add_nc_u64 s[6:7], s[6:7], s[34:35]
	v_and_b32_e32 v14, 0x3ff, v0
	v_bfe_u32 v15, v0, 10, 10
	s_load_b64 s[8:9], s[0:1], 0x70
	s_add_nc_u64 s[14:15], s[14:15], s[16:17]
	s_add_nc_u64 s[16:17], s[0:1], 0x80
	s_delay_alu instid0(VALU_DEP_1) | instskip(NEXT) | instid1(VALU_DEP_1)
	v_dual_lshlrev_b32 v16, 7, v14 :: v_dual_lshlrev_b32 v0, 2, v15
	v_add_nc_u32_e32 v17, v16, v0
	v_or_b32_e32 v18, 0x1000, v0
	s_wait_kmcnt 0x0
	s_bitcmp1_b32 s28, 0
	s_delay_alu instid0(VALU_DEP_1)
	v_add_nc_u32_e32 v19, v18, v16
	s_cselect_b32 s2, -1, 0
	s_add_co_i32 s5, s30, -1
	s_bfe_u32 s34, ttmp6, 0x4000c
	s_bfe_u32 s36, ttmp6, 0x40010
	s_ashr_i32 s38, s5, 31
	s_and_b32 s35, ttmp7, 0xffff
	s_add_co_i32 s34, s34, 1
	s_add_co_i32 s36, s36, 1
	s_lshr_b32 s38, s38, 27
	s_and_b32 s28, ttmp6, 15
	s_bfe_u32 s37, ttmp6, 0x40004
	s_mul_i32 s34, ttmp9, s34
	s_mul_i32 s36, s35, s36
	s_add_co_i32 s5, s5, s38
	s_lshl_b64 s[24:25], s[24:25], 2
	s_add_co_i32 s34, s28, s34
	s_add_co_i32 s37, s37, s36
	s_ashr_i32 s28, s5, 5
	s_cmp_eq_u32 s3, 0
	s_add_nc_u64 s[22:23], s[22:23], s[24:25]
	s_cselect_b32 s3, ttmp9, s34
	s_cselect_b32 s34, s35, s37
	v_lshl_add_u32 v0, s3, 5, v14
	s_cmp_le_i32 s34, s28
	v_add_nc_u32_e32 v20, 0x800, v18
	v_add_nc_u32_e32 v21, 0xc00, v18
	s_cselect_b32 s35, -1, 0
	v_ashrrev_i32_e32 v1, 31, v0
	v_cmp_gt_i32_e64 s3, s29, v0
	s_cmp_gt_i32 s29, 0
	s_mov_b32 s5, 0
	s_cselect_b32 s36, -1, 0
	v_lshl_add_u64 v[2:3], v[0:1], 2, s[22:23]
	v_add_nc_u32_e32 v1, 0x400, v18
	s_branch .LBB1_4
.LBB1_3:                                ;   in Loop: Header=BB1_4 Depth=1
	s_add_co_i32 s4, s4, 0x10000
	s_delay_alu instid0(SALU_CYCLE_1)
	s_cmp_lt_u32 s4, s33
	s_cbranch_scc0 .LBB1_16
.LBB1_4:                                ; =>This Loop Header: Depth=1
                                        ;     Child Loop BB1_7 Depth 2
                                        ;       Child Loop BB1_10 Depth 3
	s_and_not1_b32 vcc_lo, exec_lo, s35
	s_cbranch_vccnz .LBB1_3
; %bb.5:                                ;   in Loop: Header=BB1_4 Depth=1
	s_load_b32 s1, s[16:17], 0x4
	s_mul_u64 s[38:39], s[8:9], s[4:5]
	s_mul_u64 s[22:23], s[12:13], s[4:5]
	;; [unrolled: 1-line block ×3, first 2 shown]
	v_lshl_add_u64 v[4:5], s[38:39], 2, v[2:3]
	s_lshl_b64 s[22:23], s[22:23], 2
	s_lshl_b64 s[24:25], s[24:25], 2
	s_add_nc_u64 s[22:23], s[6:7], s[22:23]
	s_add_nc_u64 s[24:25], s[14:15], s[24:25]
	s_mov_b32 s37, s34
	s_branch .LBB1_7
.LBB1_6:                                ;   in Loop: Header=BB1_7 Depth=2
	s_wait_kmcnt 0x0
	s_add_co_i32 s37, s37, s1
	s_delay_alu instid0(SALU_CYCLE_1)
	s_cmp_gt_i32 s37, s28
	s_cbranch_scc1 .LBB1_3
.LBB1_7:                                ;   Parent Loop BB1_4 Depth=1
                                        ; =>  This Loop Header: Depth=2
                                        ;       Child Loop BB1_10 Depth 3
	s_and_not1_b32 vcc_lo, exec_lo, s36
	s_cbranch_vccnz .LBB1_6
; %bb.8:                                ;   in Loop: Header=BB1_7 Depth=2
	v_lshl_add_u32 v6, s37, 5, v15
	s_mov_b32 s39, 0
	s_delay_alu instid0(VALU_DEP_1) | instskip(SKIP_1) | instid1(VALU_DEP_2)
	v_ashrrev_i32_e32 v7, 31, v6
	v_cmp_gt_i32_e32 vcc_lo, s30, v6
	v_mul_u64_e32 v[8:9], s[18:19], v[6:7]
	v_mul_u64_e32 v[10:11], s[26:27], v[6:7]
	s_and_b32 s38, s3, vcc_lo
	s_delay_alu instid0(VALU_DEP_2) | instskip(NEXT) | instid1(VALU_DEP_2)
	v_lshl_add_u64 v[6:7], v[8:9], 2, s[24:25]
	v_lshl_add_u64 v[8:9], v[10:11], 2, v[4:5]
	s_branch .LBB1_10
.LBB1_9:                                ;   in Loop: Header=BB1_10 Depth=3
	s_wait_xcnt 0x0
	s_or_b32 exec_lo, exec_lo, s0
	s_add_co_i32 s39, s39, 32
	s_wait_storecnt 0x0
	s_cmp_ge_i32 s39, s29
	s_barrier_signal -1
	s_barrier_wait -1
	s_cbranch_scc1 .LBB1_6
.LBB1_10:                               ;   Parent Loop BB1_4 Depth=1
                                        ;     Parent Loop BB1_7 Depth=2
                                        ; =>    This Inner Loop Header: Depth=3
	v_dual_mov_b32 v22, 0 :: v_dual_add_nc_u32 v11, s39, v15
	s_delay_alu instid0(VALU_DEP_1) | instskip(NEXT) | instid1(VALU_DEP_1)
	v_dual_cndmask_b32 v10, v11, v0, s2 :: v_dual_cndmask_b32 v12, v0, v11, s2
	v_cmp_gt_i32_e64 s0, v10, v12
	s_delay_alu instid0(VALU_DEP_1) | instskip(NEXT) | instid1(VALU_DEP_1)
	v_dual_cndmask_b32 v10, v0, v11, s0 :: v_dual_cndmask_b32 v12, v11, v0, s0
	v_max_i32_e32 v11, v10, v12
	s_delay_alu instid0(VALU_DEP_1)
	v_cmp_gt_i32_e64 s0, s29, v11
	v_mov_b32_e32 v11, 0
	s_and_saveexec_b32 s40, s0
	s_cbranch_execz .LBB1_12
; %bb.11:                               ;   in Loop: Header=BB1_10 Depth=3
	v_dual_ashrrev_i32 v13, 31, v12 :: v_dual_ashrrev_i32 v11, 31, v10
	s_delay_alu instid0(VALU_DEP_1) | instskip(NEXT) | instid1(VALU_DEP_1)
	v_mul_u64_e32 v[12:13], s[10:11], v[12:13]
	v_lshl_add_u64 v[12:13], v[12:13], 2, s[22:23]
	s_delay_alu instid0(VALU_DEP_1)
	v_lshl_add_u64 v[10:11], v[10:11], 2, v[12:13]
	global_load_b32 v11, v[10:11], off
.LBB1_12:                               ;   in Loop: Header=BB1_10 Depth=3
	s_wait_xcnt 0x0
	s_or_b32 exec_lo, exec_lo, s40
	v_add_nc_u32_e32 v10, s39, v14
	s_wait_loadcnt 0x0
	ds_store_b32 v17, v11
	v_cmp_gt_i32_e64 s0, s29, v10
	s_and_b32 s40, s0, vcc_lo
	s_delay_alu instid0(SALU_CYCLE_1)
	s_and_saveexec_b32 s0, s40
	s_cbranch_execz .LBB1_14
; %bb.13:                               ;   in Loop: Header=BB1_10 Depth=3
	v_ashrrev_i32_e32 v11, 31, v10
	s_delay_alu instid0(VALU_DEP_1)
	v_lshl_add_u64 v[10:11], v[10:11], 2, v[6:7]
	global_load_b32 v22, v[10:11], off
.LBB1_14:                               ;   in Loop: Header=BB1_10 Depth=3
	s_wait_xcnt 0x0
	s_or_b32 exec_lo, exec_lo, s0
	s_wait_loadcnt 0x0
	ds_store_b32 v19, v22
	s_wait_dscnt 0x0
	s_barrier_signal -1
	s_barrier_wait -1
	s_and_saveexec_b32 s0, s38
	s_cbranch_execz .LBB1_9
; %bb.15:                               ;   in Loop: Header=BB1_10 Depth=3
	global_load_b32 v32, v[8:9], off
	ds_load_b128 v[10:13], v16
	ds_load_2addr_b32 v[26:27], v18 offset1:32
	ds_load_2addr_b32 v[28:29], v18 offset0:64 offset1:96
	ds_load_b128 v[22:25], v16 offset:16
	ds_load_2addr_b32 v[30:31], v18 offset0:128 offset1:160
	s_wait_dscnt 0x3
	v_fma_f32 v33, v10, v26, 0
	s_delay_alu instid0(VALU_DEP_1) | instskip(SKIP_3) | instid1(VALU_DEP_1)
	v_fmac_f32_e32 v33, v11, v27
	ds_load_2addr_b32 v[26:27], v18 offset0:192 offset1:224
	s_wait_dscnt 0x3
	v_fmac_f32_e32 v33, v12, v28
	v_fmac_f32_e32 v33, v13, v29
	ds_load_b128 v[10:13], v16 offset:32
	ds_load_2addr_b32 v[28:29], v1 offset1:32
	s_wait_dscnt 0x3
	v_fmac_f32_e32 v33, v22, v30
	s_delay_alu instid0(VALU_DEP_1) | instskip(SKIP_3) | instid1(VALU_DEP_1)
	v_fmac_f32_e32 v33, v23, v31
	ds_load_2addr_b32 v[30:31], v1 offset0:64 offset1:96
	s_wait_dscnt 0x3
	v_fmac_f32_e32 v33, v24, v26
	v_fmac_f32_e32 v33, v25, v27
	ds_load_b128 v[22:25], v16 offset:48
	ds_load_2addr_b32 v[26:27], v1 offset0:128 offset1:160
	s_wait_dscnt 0x3
	v_fmac_f32_e32 v33, v10, v28
	s_delay_alu instid0(VALU_DEP_1) | instskip(SKIP_3) | instid1(VALU_DEP_1)
	v_fmac_f32_e32 v33, v11, v29
	ds_load_2addr_b32 v[28:29], v1 offset0:192 offset1:224
	s_wait_dscnt 0x3
	v_fmac_f32_e32 v33, v12, v30
	v_fmac_f32_e32 v33, v13, v31
	ds_load_b128 v[10:13], v16 offset:64
	ds_load_2addr_b32 v[30:31], v20 offset1:32
	s_wait_dscnt 0x3
	v_fmac_f32_e32 v33, v22, v26
	s_delay_alu instid0(VALU_DEP_1) | instskip(SKIP_3) | instid1(VALU_DEP_1)
	v_fmac_f32_e32 v33, v23, v27
	ds_load_2addr_b32 v[26:27], v20 offset0:64 offset1:96
	s_wait_dscnt 0x3
	v_fmac_f32_e32 v33, v24, v28
	v_fmac_f32_e32 v33, v25, v29
	ds_load_b128 v[22:25], v16 offset:80
	ds_load_2addr_b32 v[28:29], v20 offset0:128 offset1:160
	s_wait_dscnt 0x3
	v_fmac_f32_e32 v33, v10, v30
	s_delay_alu instid0(VALU_DEP_1) | instskip(SKIP_3) | instid1(VALU_DEP_1)
	v_fmac_f32_e32 v33, v11, v31
	ds_load_2addr_b32 v[30:31], v20 offset0:192 offset1:224
	s_wait_dscnt 0x3
	v_fmac_f32_e32 v33, v12, v26
	v_fmac_f32_e32 v33, v13, v27
	ds_load_2addr_b32 v[26:27], v21 offset1:32
	ds_load_b128 v[10:13], v16 offset:96
	s_wait_dscnt 0x3
	v_fmac_f32_e32 v33, v22, v28
	s_delay_alu instid0(VALU_DEP_1) | instskip(SKIP_4) | instid1(VALU_DEP_1)
	v_fmac_f32_e32 v33, v23, v29
	s_wait_dscnt 0x2
	v_pk_mul_f32 v[22:23], v[24:25], v[30:31]
	ds_load_2addr_b32 v[28:29], v21 offset0:64 offset1:96
	v_add_f32_e32 v22, v33, v22
	v_add_f32_e32 v30, v22, v23
	ds_load_b128 v[22:25], v16 offset:112
	s_wait_dscnt 0x2
	v_pk_mul_f32 v[10:11], v[10:11], v[26:27]
	ds_load_2addr_b32 v[26:27], v21 offset0:128 offset1:160
	v_add_f32_e32 v10, v30, v10
	s_delay_alu instid0(VALU_DEP_1) | instskip(SKIP_4) | instid1(VALU_DEP_1)
	v_add_f32_e32 v30, v10, v11
	s_wait_dscnt 0x2
	v_pk_mul_f32 v[10:11], v[12:13], v[28:29]
	ds_load_2addr_b32 v[12:13], v21 offset0:192 offset1:224
	v_add_f32_e32 v10, v30, v10
	v_add_f32_e32 v28, v10, v11
	s_wait_dscnt 0x1
	v_pk_mul_f32 v[10:11], v[22:23], v[26:27]
	s_delay_alu instid0(VALU_DEP_1) | instskip(NEXT) | instid1(VALU_DEP_1)
	v_add_f32_e32 v10, v28, v10
	v_add_f32_e32 v22, v10, v11
	s_wait_dscnt 0x0
	v_pk_mul_f32 v[10:11], v[24:25], v[12:13]
	s_delay_alu instid0(VALU_DEP_1) | instskip(NEXT) | instid1(VALU_DEP_1)
	v_add_f32_e32 v10, v22, v10
	v_add_f32_e32 v10, v10, v11
	s_wait_loadcnt 0x0
	s_delay_alu instid0(VALU_DEP_1)
	v_fmac_f32_e32 v32, s31, v10
	global_store_b32 v[8:9], v32, off
	s_branch .LBB1_9
.LBB1_16:
	s_endpgm
	.section	.rodata,"a",@progbits
	.p2align	6, 0x0
	.amdhsa_kernel _ZL24rocblas_symm_hemm_kernelILb0ELb0ELi32EPKfS1_PfEvbiiT2_T3_lllS4_lllT4_llli
		.amdhsa_group_segment_fixed_size 8192
		.amdhsa_private_segment_fixed_size 0
		.amdhsa_kernarg_size 384
		.amdhsa_user_sgpr_count 2
		.amdhsa_user_sgpr_dispatch_ptr 0
		.amdhsa_user_sgpr_queue_ptr 0
		.amdhsa_user_sgpr_kernarg_segment_ptr 1
		.amdhsa_user_sgpr_dispatch_id 0
		.amdhsa_user_sgpr_kernarg_preload_length 0
		.amdhsa_user_sgpr_kernarg_preload_offset 0
		.amdhsa_user_sgpr_private_segment_size 0
		.amdhsa_wavefront_size32 1
		.amdhsa_uses_dynamic_stack 0
		.amdhsa_enable_private_segment 0
		.amdhsa_system_sgpr_workgroup_id_x 1
		.amdhsa_system_sgpr_workgroup_id_y 1
		.amdhsa_system_sgpr_workgroup_id_z 1
		.amdhsa_system_sgpr_workgroup_info 0
		.amdhsa_system_vgpr_workitem_id 1
		.amdhsa_next_free_vgpr 34
		.amdhsa_next_free_sgpr 41
		.amdhsa_named_barrier_count 0
		.amdhsa_reserve_vcc 1
		.amdhsa_float_round_mode_32 0
		.amdhsa_float_round_mode_16_64 0
		.amdhsa_float_denorm_mode_32 3
		.amdhsa_float_denorm_mode_16_64 3
		.amdhsa_fp16_overflow 0
		.amdhsa_memory_ordered 1
		.amdhsa_forward_progress 1
		.amdhsa_inst_pref_size 11
		.amdhsa_round_robin_scheduling 0
		.amdhsa_exception_fp_ieee_invalid_op 0
		.amdhsa_exception_fp_denorm_src 0
		.amdhsa_exception_fp_ieee_div_zero 0
		.amdhsa_exception_fp_ieee_overflow 0
		.amdhsa_exception_fp_ieee_underflow 0
		.amdhsa_exception_fp_ieee_inexact 0
		.amdhsa_exception_int_div_zero 0
	.end_amdhsa_kernel
	.section	.text._ZL24rocblas_symm_hemm_kernelILb0ELb0ELi32EPKfS1_PfEvbiiT2_T3_lllS4_lllT4_llli,"axG",@progbits,_ZL24rocblas_symm_hemm_kernelILb0ELb0ELi32EPKfS1_PfEvbiiT2_T3_lllS4_lllT4_llli,comdat
.Lfunc_end1:
	.size	_ZL24rocblas_symm_hemm_kernelILb0ELb0ELi32EPKfS1_PfEvbiiT2_T3_lllS4_lllT4_llli, .Lfunc_end1-_ZL24rocblas_symm_hemm_kernelILb0ELb0ELi32EPKfS1_PfEvbiiT2_T3_lllS4_lllT4_llli
                                        ; -- End function
	.set _ZL24rocblas_symm_hemm_kernelILb0ELb0ELi32EPKfS1_PfEvbiiT2_T3_lllS4_lllT4_llli.num_vgpr, 34
	.set _ZL24rocblas_symm_hemm_kernelILb0ELb0ELi32EPKfS1_PfEvbiiT2_T3_lllS4_lllT4_llli.num_agpr, 0
	.set _ZL24rocblas_symm_hemm_kernelILb0ELb0ELi32EPKfS1_PfEvbiiT2_T3_lllS4_lllT4_llli.numbered_sgpr, 41
	.set _ZL24rocblas_symm_hemm_kernelILb0ELb0ELi32EPKfS1_PfEvbiiT2_T3_lllS4_lllT4_llli.num_named_barrier, 0
	.set _ZL24rocblas_symm_hemm_kernelILb0ELb0ELi32EPKfS1_PfEvbiiT2_T3_lllS4_lllT4_llli.private_seg_size, 0
	.set _ZL24rocblas_symm_hemm_kernelILb0ELb0ELi32EPKfS1_PfEvbiiT2_T3_lllS4_lllT4_llli.uses_vcc, 1
	.set _ZL24rocblas_symm_hemm_kernelILb0ELb0ELi32EPKfS1_PfEvbiiT2_T3_lllS4_lllT4_llli.uses_flat_scratch, 0
	.set _ZL24rocblas_symm_hemm_kernelILb0ELb0ELi32EPKfS1_PfEvbiiT2_T3_lllS4_lllT4_llli.has_dyn_sized_stack, 0
	.set _ZL24rocblas_symm_hemm_kernelILb0ELb0ELi32EPKfS1_PfEvbiiT2_T3_lllS4_lllT4_llli.has_recursion, 0
	.set _ZL24rocblas_symm_hemm_kernelILb0ELb0ELi32EPKfS1_PfEvbiiT2_T3_lllS4_lllT4_llli.has_indirect_call, 0
	.section	.AMDGPU.csdata,"",@progbits
; Kernel info:
; codeLenInByte = 1340
; TotalNumSgprs: 43
; NumVgprs: 34
; ScratchSize: 0
; MemoryBound: 0
; FloatMode: 240
; IeeeMode: 1
; LDSByteSize: 8192 bytes/workgroup (compile time only)
; SGPRBlocks: 0
; VGPRBlocks: 2
; NumSGPRsForWavesPerEU: 43
; NumVGPRsForWavesPerEU: 34
; NamedBarCnt: 0
; Occupancy: 16
; WaveLimiterHint : 1
; COMPUTE_PGM_RSRC2:SCRATCH_EN: 0
; COMPUTE_PGM_RSRC2:USER_SGPR: 2
; COMPUTE_PGM_RSRC2:TRAP_HANDLER: 0
; COMPUTE_PGM_RSRC2:TGID_X_EN: 1
; COMPUTE_PGM_RSRC2:TGID_Y_EN: 1
; COMPUTE_PGM_RSRC2:TGID_Z_EN: 1
; COMPUTE_PGM_RSRC2:TIDIG_COMP_CNT: 1
	.section	.text._ZL24rocblas_symm_hemm_kernelILb0ELb1ELi32EPKfS1_PfEvbiiT2_T3_lllS4_lllT4_llli,"axG",@progbits,_ZL24rocblas_symm_hemm_kernelILb0ELb1ELi32EPKfS1_PfEvbiiT2_T3_lllS4_lllT4_llli,comdat
	.globl	_ZL24rocblas_symm_hemm_kernelILb0ELb1ELi32EPKfS1_PfEvbiiT2_T3_lllS4_lllT4_llli ; -- Begin function _ZL24rocblas_symm_hemm_kernelILb0ELb1ELi32EPKfS1_PfEvbiiT2_T3_lllS4_lllT4_llli
	.p2align	8
	.type	_ZL24rocblas_symm_hemm_kernelILb0ELb1ELi32EPKfS1_PfEvbiiT2_T3_lllS4_lllT4_llli,@function
_ZL24rocblas_symm_hemm_kernelILb0ELb1ELi32EPKfS1_PfEvbiiT2_T3_lllS4_lllT4_llli: ; @_ZL24rocblas_symm_hemm_kernelILb0ELb1ELi32EPKfS1_PfEvbiiT2_T3_lllS4_lllT4_llli
; %bb.0:
	s_load_b512 s[4:19], s[0:1], 0x10
	s_wait_kmcnt 0x0
	s_load_b32 s31, s[4:5], 0x0
	s_wait_kmcnt 0x0
	s_cmp_eq_f32 s31, 0
	s_cbranch_scc1 .LBB2_16
; %bb.1:
	s_load_b32 s33, s[0:1], 0x78
	s_bfe_u32 s2, ttmp6, 0x40014
	s_lshr_b32 s4, ttmp7, 16
	s_add_co_i32 s2, s2, 1
	s_bfe_u32 s5, ttmp6, 0x40008
	s_mul_i32 s2, s4, s2
	s_getreg_b32 s3, hwreg(HW_REG_IB_STS2, 6, 4)
	s_add_co_i32 s5, s5, s2
	s_cmp_eq_u32 s3, 0
	s_cselect_b32 s4, s4, s5
	s_wait_kmcnt 0x0
	s_cmp_ge_u32 s4, s33
	s_cbranch_scc1 .LBB2_16
; %bb.2:
	s_clause 0x1
	s_load_b96 s[28:30], s[0:1], 0x0
	s_load_b256 s[20:27], s[0:1], 0x50
	s_lshl_b64 s[34:35], s[8:9], 2
	v_bfe_u32 v16, v0, 10, 10
	v_and_b32_e32 v17, 0x3ff, v0
	s_add_nc_u64 s[6:7], s[6:7], s[34:35]
	s_delay_alu instid0(VALU_DEP_1) | instskip(NEXT) | instid1(VALU_DEP_1)
	v_dual_lshlrev_b32 v1, 2, v16 :: v_dual_lshlrev_b32 v18, 7, v17
	v_or_b32_e32 v19, 0x1000, v1
	s_delay_alu instid0(VALU_DEP_1)
	v_dual_add_nc_u32 v20, v18, v1 :: v_dual_add_nc_u32 v21, v19, v18
	v_add_nc_u32_e32 v22, 0x400, v19
	s_wait_kmcnt 0x0
	s_bitcmp1_b32 s28, 0
	v_add_nc_u32_e32 v23, 0x800, v19
	s_cselect_b32 s2, -1, 0
	s_add_co_i32 s5, s30, -1
	s_lshl_b64 s[36:37], s[16:17], 2
	s_bfe_u32 s9, ttmp6, 0x4000c
	s_bfe_u32 s16, ttmp6, 0x40010
	s_ashr_i32 s38, s5, 31
	s_and_b32 s17, ttmp7, 0xffff
	s_add_co_i32 s9, s9, 1
	s_add_co_i32 s16, s16, 1
	s_lshr_b32 s38, s38, 27
	s_and_b32 s8, ttmp6, 15
	s_bfe_u32 s28, ttmp6, 0x40004
	s_mul_i32 s9, ttmp9, s9
	s_mul_i32 s16, s17, s16
	s_add_co_i32 s5, s5, s38
	s_lshl_b64 s[24:25], s[24:25], 2
	s_add_co_i32 s8, s8, s9
	s_add_co_i32 s28, s28, s16
	s_ashr_i32 s16, s5, 5
	s_cmp_eq_u32 s3, 0
	s_add_nc_u64 s[14:15], s[14:15], s[36:37]
	s_cselect_b32 s3, ttmp9, s8
	s_load_b64 s[8:9], s[0:1], 0x70
	v_lshl_add_u32 v0, s3, 5, v17
	s_add_nc_u64 s[24:25], s[22:23], s[24:25]
	s_cselect_b32 s17, s17, s28
	v_add_nc_u32_e32 v24, 0xc00, v19
	s_cmp_le_i32 s17, s16
	v_ashrrev_i32_e32 v1, 31, v0
	v_cmp_gt_i32_e64 s3, s29, v0
	s_cselect_b32 s22, -1, 0
	s_cmp_gt_i32 s30, 0
	s_mov_b32 s5, 0
	v_lshlrev_b64_e32 v[2:3], 2, v[0:1]
	s_cselect_b32 s23, -1, 0
	s_wait_xcnt 0x0
	s_add_nc_u64 s[0:1], s[0:1], 0x80
	s_delay_alu instid0(VALU_DEP_1)
	v_add_nc_u64_e32 v[0:1], s[14:15], v[2:3]
	v_add_nc_u64_e32 v[2:3], s[24:25], v[2:3]
	s_branch .LBB2_4
.LBB2_3:                                ;   in Loop: Header=BB2_4 Depth=1
	s_add_co_i32 s4, s4, 0x10000
	s_delay_alu instid0(SALU_CYCLE_1)
	s_cmp_lt_u32 s4, s33
	s_cbranch_scc0 .LBB2_16
.LBB2_4:                                ; =>This Loop Header: Depth=1
                                        ;     Child Loop BB2_7 Depth 2
                                        ;       Child Loop BB2_10 Depth 3
	s_and_not1_b32 vcc_lo, exec_lo, s22
	s_cbranch_vccnz .LBB2_3
; %bb.5:                                ;   in Loop: Header=BB2_4 Depth=1
	s_load_b32 s24, s[0:1], 0x4
	s_mul_u64 s[28:29], s[20:21], s[4:5]
	s_wait_kmcnt 0x0
	s_mul_u64 s[34:35], s[8:9], s[4:5]
	s_mul_u64 s[14:15], s[12:13], s[4:5]
	v_lshl_add_u64 v[4:5], s[28:29], 2, v[0:1]
	v_lshl_add_u64 v[6:7], s[34:35], 2, v[2:3]
	s_lshl_b64 s[14:15], s[14:15], 2
	s_mov_b32 s25, s17
	s_add_nc_u64 s[14:15], s[6:7], s[14:15]
	s_branch .LBB2_7
.LBB2_6:                                ;   in Loop: Header=BB2_7 Depth=2
	s_add_co_i32 s25, s25, s24
	s_delay_alu instid0(SALU_CYCLE_1)
	s_cmp_gt_i32 s25, s16
	s_cbranch_scc1 .LBB2_3
.LBB2_7:                                ;   Parent Loop BB2_4 Depth=1
                                        ; =>  This Loop Header: Depth=2
                                        ;       Child Loop BB2_10 Depth 3
	s_and_not1_b32 vcc_lo, exec_lo, s23
	s_cbranch_vccnz .LBB2_6
; %bb.8:                                ;   in Loop: Header=BB2_7 Depth=2
	v_lshl_add_u32 v8, s25, 5, v16
	s_mov_b32 s29, 0
	s_delay_alu instid0(VALU_DEP_1) | instskip(SKIP_1) | instid1(VALU_DEP_2)
	v_ashrrev_i32_e32 v9, 31, v8
	v_cmp_gt_i32_e32 vcc_lo, s30, v8
	v_mul_u64_e32 v[10:11], s[26:27], v[8:9]
	s_and_b32 s28, s3, vcc_lo
	s_delay_alu instid0(VALU_DEP_1)
	v_lshl_add_u64 v[10:11], v[10:11], 2, v[6:7]
	s_branch .LBB2_10
.LBB2_9:                                ;   in Loop: Header=BB2_10 Depth=3
	s_wait_xcnt 0x0
	s_or_b32 exec_lo, exec_lo, s34
	s_add_co_i32 s29, s29, 32
	s_wait_storecnt 0x0
	s_cmp_ge_i32 s29, s30
	s_barrier_signal -1
	s_barrier_wait -1
	s_cbranch_scc1 .LBB2_6
.LBB2_10:                               ;   Parent Loop BB2_4 Depth=1
                                        ;     Parent Loop BB2_7 Depth=2
                                        ; =>    This Inner Loop Header: Depth=3
	v_dual_mov_b32 v9, 0 :: v_dual_add_nc_u32 v12, s29, v16
	v_mov_b32_e32 v13, 0
	s_delay_alu instid0(VALU_DEP_2) | instskip(SKIP_1) | instid1(SALU_CYCLE_1)
	v_cmp_gt_i32_e32 vcc_lo, s30, v12
	s_and_b32 s35, s3, vcc_lo
	s_and_saveexec_b32 s34, s35
	s_cbranch_execz .LBB2_12
; %bb.11:                               ;   in Loop: Header=BB2_10 Depth=3
	v_ashrrev_i32_e32 v13, 31, v12
	s_delay_alu instid0(VALU_DEP_1) | instskip(NEXT) | instid1(VALU_DEP_1)
	v_mul_u64_e32 v[12:13], s[18:19], v[12:13]
	v_lshl_add_u64 v[12:13], v[12:13], 2, v[4:5]
	global_load_b32 v13, v[12:13], off
.LBB2_12:                               ;   in Loop: Header=BB2_10 Depth=3
	s_wait_xcnt 0x0
	s_or_b32 exec_lo, exec_lo, s34
	v_add_nc_u32_e32 v14, s29, v17
	s_mov_b32 s34, exec_lo
	s_wait_loadcnt 0x0
	ds_store_b32 v20, v13
	v_dual_cndmask_b32 v12, v8, v14, s2 :: v_dual_cndmask_b32 v15, v14, v8, s2
	s_delay_alu instid0(VALU_DEP_1) | instskip(SKIP_1) | instid1(VALU_DEP_1)
	v_cmp_gt_i32_e32 vcc_lo, v12, v15
	v_dual_cndmask_b32 v12, v14, v8, vcc_lo :: v_dual_cndmask_b32 v14, v8, v14, vcc_lo
	v_max_i32_e32 v15, v12, v14
	s_delay_alu instid0(VALU_DEP_1)
	v_cmpx_gt_i32_e64 s30, v15
	s_cbranch_execz .LBB2_14
; %bb.13:                               ;   in Loop: Header=BB2_10 Depth=3
	v_dual_ashrrev_i32 v15, 31, v14 :: v_dual_ashrrev_i32 v13, 31, v12
	s_delay_alu instid0(VALU_DEP_1) | instskip(NEXT) | instid1(VALU_DEP_1)
	v_mul_u64_e32 v[14:15], s[10:11], v[14:15]
	v_lshl_add_u64 v[14:15], v[14:15], 2, s[14:15]
	s_delay_alu instid0(VALU_DEP_1)
	v_lshl_add_u64 v[12:13], v[12:13], 2, v[14:15]
	global_load_b32 v9, v[12:13], off
.LBB2_14:                               ;   in Loop: Header=BB2_10 Depth=3
	s_wait_xcnt 0x0
	s_or_b32 exec_lo, exec_lo, s34
	s_wait_loadcnt 0x0
	ds_store_b32 v21, v9
	s_wait_dscnt 0x0
	s_barrier_signal -1
	s_barrier_wait -1
	s_and_saveexec_b32 s34, s28
	s_cbranch_execz .LBB2_9
; %bb.15:                               ;   in Loop: Header=BB2_10 Depth=3
	global_load_b32 v9, v[10:11], off
	ds_load_b128 v[12:15], v18
	ds_load_2addr_b32 v[30:31], v19 offset1:32
	ds_load_2addr_b32 v[32:33], v19 offset0:64 offset1:96
	ds_load_b128 v[26:29], v18 offset:16
	ds_load_2addr_b32 v[34:35], v19 offset0:128 offset1:160
	s_wait_dscnt 0x3
	v_fma_f32 v25, v12, v30, 0
	s_delay_alu instid0(VALU_DEP_1) | instskip(SKIP_3) | instid1(VALU_DEP_1)
	v_fmac_f32_e32 v25, v13, v31
	ds_load_2addr_b32 v[30:31], v19 offset0:192 offset1:224
	s_wait_dscnt 0x3
	v_fmac_f32_e32 v25, v14, v32
	v_fmac_f32_e32 v25, v15, v33
	ds_load_b128 v[12:15], v18 offset:32
	ds_load_2addr_b32 v[32:33], v22 offset1:32
	s_wait_dscnt 0x3
	v_fmac_f32_e32 v25, v26, v34
	s_delay_alu instid0(VALU_DEP_1) | instskip(SKIP_3) | instid1(VALU_DEP_1)
	v_fmac_f32_e32 v25, v27, v35
	ds_load_2addr_b32 v[34:35], v22 offset0:64 offset1:96
	s_wait_dscnt 0x3
	v_fmac_f32_e32 v25, v28, v30
	v_fmac_f32_e32 v25, v29, v31
	ds_load_b128 v[26:29], v18 offset:48
	ds_load_2addr_b32 v[30:31], v22 offset0:128 offset1:160
	s_wait_dscnt 0x3
	v_fmac_f32_e32 v25, v12, v32
	s_delay_alu instid0(VALU_DEP_1) | instskip(SKIP_3) | instid1(VALU_DEP_1)
	v_fmac_f32_e32 v25, v13, v33
	ds_load_2addr_b32 v[32:33], v22 offset0:192 offset1:224
	s_wait_dscnt 0x3
	v_fmac_f32_e32 v25, v14, v34
	v_fmac_f32_e32 v25, v15, v35
	ds_load_b128 v[12:15], v18 offset:64
	ds_load_2addr_b32 v[34:35], v23 offset1:32
	s_wait_dscnt 0x3
	v_fmac_f32_e32 v25, v26, v30
	s_delay_alu instid0(VALU_DEP_1) | instskip(SKIP_3) | instid1(VALU_DEP_1)
	v_fmac_f32_e32 v25, v27, v31
	ds_load_2addr_b32 v[30:31], v23 offset0:64 offset1:96
	s_wait_dscnt 0x3
	v_fmac_f32_e32 v25, v28, v32
	v_fmac_f32_e32 v25, v29, v33
	ds_load_b128 v[26:29], v18 offset:80
	ds_load_2addr_b32 v[32:33], v23 offset0:128 offset1:160
	s_wait_dscnt 0x3
	v_fmac_f32_e32 v25, v12, v34
	s_delay_alu instid0(VALU_DEP_1) | instskip(SKIP_3) | instid1(VALU_DEP_1)
	v_fmac_f32_e32 v25, v13, v35
	ds_load_2addr_b32 v[34:35], v23 offset0:192 offset1:224
	s_wait_dscnt 0x3
	v_fmac_f32_e32 v25, v14, v30
	v_fmac_f32_e32 v25, v15, v31
	ds_load_2addr_b32 v[30:31], v24 offset1:32
	ds_load_b128 v[12:15], v18 offset:96
	s_wait_dscnt 0x3
	v_fmac_f32_e32 v25, v26, v32
	s_delay_alu instid0(VALU_DEP_1) | instskip(SKIP_4) | instid1(VALU_DEP_1)
	v_fmac_f32_e32 v25, v27, v33
	s_wait_dscnt 0x2
	v_pk_mul_f32 v[26:27], v[28:29], v[34:35]
	ds_load_2addr_b32 v[32:33], v24 offset0:64 offset1:96
	v_add_f32_e32 v25, v25, v26
	v_add_f32_e32 v25, v25, v27
	ds_load_b128 v[26:29], v18 offset:112
	s_wait_dscnt 0x2
	v_pk_mul_f32 v[12:13], v[12:13], v[30:31]
	ds_load_2addr_b32 v[30:31], v24 offset0:128 offset1:160
	v_add_f32_e32 v12, v25, v12
	s_delay_alu instid0(VALU_DEP_1) | instskip(SKIP_4) | instid1(VALU_DEP_1)
	v_add_f32_e32 v25, v12, v13
	s_wait_dscnt 0x2
	v_pk_mul_f32 v[12:13], v[14:15], v[32:33]
	ds_load_2addr_b32 v[14:15], v24 offset0:192 offset1:224
	v_add_f32_e32 v12, v25, v12
	v_add_f32_e32 v25, v12, v13
	s_wait_dscnt 0x1
	v_pk_mul_f32 v[12:13], v[26:27], v[30:31]
	s_delay_alu instid0(VALU_DEP_1) | instskip(NEXT) | instid1(VALU_DEP_1)
	v_add_f32_e32 v12, v25, v12
	v_add_f32_e32 v25, v12, v13
	s_wait_dscnt 0x0
	v_pk_mul_f32 v[12:13], v[28:29], v[14:15]
	s_delay_alu instid0(VALU_DEP_1) | instskip(NEXT) | instid1(VALU_DEP_1)
	v_add_f32_e32 v12, v25, v12
	v_add_f32_e32 v12, v12, v13
	s_wait_loadcnt 0x0
	s_delay_alu instid0(VALU_DEP_1)
	v_fmac_f32_e32 v9, s31, v12
	global_store_b32 v[10:11], v9, off
	s_branch .LBB2_9
.LBB2_16:
	s_endpgm
	.section	.rodata,"a",@progbits
	.p2align	6, 0x0
	.amdhsa_kernel _ZL24rocblas_symm_hemm_kernelILb0ELb1ELi32EPKfS1_PfEvbiiT2_T3_lllS4_lllT4_llli
		.amdhsa_group_segment_fixed_size 8192
		.amdhsa_private_segment_fixed_size 0
		.amdhsa_kernarg_size 384
		.amdhsa_user_sgpr_count 2
		.amdhsa_user_sgpr_dispatch_ptr 0
		.amdhsa_user_sgpr_queue_ptr 0
		.amdhsa_user_sgpr_kernarg_segment_ptr 1
		.amdhsa_user_sgpr_dispatch_id 0
		.amdhsa_user_sgpr_kernarg_preload_length 0
		.amdhsa_user_sgpr_kernarg_preload_offset 0
		.amdhsa_user_sgpr_private_segment_size 0
		.amdhsa_wavefront_size32 1
		.amdhsa_uses_dynamic_stack 0
		.amdhsa_enable_private_segment 0
		.amdhsa_system_sgpr_workgroup_id_x 1
		.amdhsa_system_sgpr_workgroup_id_y 1
		.amdhsa_system_sgpr_workgroup_id_z 1
		.amdhsa_system_sgpr_workgroup_info 0
		.amdhsa_system_vgpr_workitem_id 1
		.amdhsa_next_free_vgpr 36
		.amdhsa_next_free_sgpr 39
		.amdhsa_named_barrier_count 0
		.amdhsa_reserve_vcc 1
		.amdhsa_float_round_mode_32 0
		.amdhsa_float_round_mode_16_64 0
		.amdhsa_float_denorm_mode_32 3
		.amdhsa_float_denorm_mode_16_64 3
		.amdhsa_fp16_overflow 0
		.amdhsa_memory_ordered 1
		.amdhsa_forward_progress 1
		.amdhsa_inst_pref_size 11
		.amdhsa_round_robin_scheduling 0
		.amdhsa_exception_fp_ieee_invalid_op 0
		.amdhsa_exception_fp_denorm_src 0
		.amdhsa_exception_fp_ieee_div_zero 0
		.amdhsa_exception_fp_ieee_overflow 0
		.amdhsa_exception_fp_ieee_underflow 0
		.amdhsa_exception_fp_ieee_inexact 0
		.amdhsa_exception_int_div_zero 0
	.end_amdhsa_kernel
	.section	.text._ZL24rocblas_symm_hemm_kernelILb0ELb1ELi32EPKfS1_PfEvbiiT2_T3_lllS4_lllT4_llli,"axG",@progbits,_ZL24rocblas_symm_hemm_kernelILb0ELb1ELi32EPKfS1_PfEvbiiT2_T3_lllS4_lllT4_llli,comdat
.Lfunc_end2:
	.size	_ZL24rocblas_symm_hemm_kernelILb0ELb1ELi32EPKfS1_PfEvbiiT2_T3_lllS4_lllT4_llli, .Lfunc_end2-_ZL24rocblas_symm_hemm_kernelILb0ELb1ELi32EPKfS1_PfEvbiiT2_T3_lllS4_lllT4_llli
                                        ; -- End function
	.set _ZL24rocblas_symm_hemm_kernelILb0ELb1ELi32EPKfS1_PfEvbiiT2_T3_lllS4_lllT4_llli.num_vgpr, 36
	.set _ZL24rocblas_symm_hemm_kernelILb0ELb1ELi32EPKfS1_PfEvbiiT2_T3_lllS4_lllT4_llli.num_agpr, 0
	.set _ZL24rocblas_symm_hemm_kernelILb0ELb1ELi32EPKfS1_PfEvbiiT2_T3_lllS4_lllT4_llli.numbered_sgpr, 39
	.set _ZL24rocblas_symm_hemm_kernelILb0ELb1ELi32EPKfS1_PfEvbiiT2_T3_lllS4_lllT4_llli.num_named_barrier, 0
	.set _ZL24rocblas_symm_hemm_kernelILb0ELb1ELi32EPKfS1_PfEvbiiT2_T3_lllS4_lllT4_llli.private_seg_size, 0
	.set _ZL24rocblas_symm_hemm_kernelILb0ELb1ELi32EPKfS1_PfEvbiiT2_T3_lllS4_lllT4_llli.uses_vcc, 1
	.set _ZL24rocblas_symm_hemm_kernelILb0ELb1ELi32EPKfS1_PfEvbiiT2_T3_lllS4_lllT4_llli.uses_flat_scratch, 0
	.set _ZL24rocblas_symm_hemm_kernelILb0ELb1ELi32EPKfS1_PfEvbiiT2_T3_lllS4_lllT4_llli.has_dyn_sized_stack, 0
	.set _ZL24rocblas_symm_hemm_kernelILb0ELb1ELi32EPKfS1_PfEvbiiT2_T3_lllS4_lllT4_llli.has_recursion, 0
	.set _ZL24rocblas_symm_hemm_kernelILb0ELb1ELi32EPKfS1_PfEvbiiT2_T3_lllS4_lllT4_llli.has_indirect_call, 0
	.section	.AMDGPU.csdata,"",@progbits
; Kernel info:
; codeLenInByte = 1336
; TotalNumSgprs: 41
; NumVgprs: 36
; ScratchSize: 0
; MemoryBound: 0
; FloatMode: 240
; IeeeMode: 1
; LDSByteSize: 8192 bytes/workgroup (compile time only)
; SGPRBlocks: 0
; VGPRBlocks: 2
; NumSGPRsForWavesPerEU: 41
; NumVGPRsForWavesPerEU: 36
; NamedBarCnt: 0
; Occupancy: 16
; WaveLimiterHint : 1
; COMPUTE_PGM_RSRC2:SCRATCH_EN: 0
; COMPUTE_PGM_RSRC2:USER_SGPR: 2
; COMPUTE_PGM_RSRC2:TRAP_HANDLER: 0
; COMPUTE_PGM_RSRC2:TGID_X_EN: 1
; COMPUTE_PGM_RSRC2:TGID_Y_EN: 1
; COMPUTE_PGM_RSRC2:TGID_Z_EN: 1
; COMPUTE_PGM_RSRC2:TIDIG_COMP_CNT: 1
	.section	.text._ZL25rocblas_symm_scale_kernelILi128ELi8EfPfEviiT1_T2_llli,"axG",@progbits,_ZL25rocblas_symm_scale_kernelILi128ELi8EfPfEviiT1_T2_llli,comdat
	.globl	_ZL25rocblas_symm_scale_kernelILi128ELi8EfPfEviiT1_T2_llli ; -- Begin function _ZL25rocblas_symm_scale_kernelILi128ELi8EfPfEviiT1_T2_llli
	.p2align	8
	.type	_ZL25rocblas_symm_scale_kernelILi128ELi8EfPfEviiT1_T2_llli,@function
_ZL25rocblas_symm_scale_kernelILi128ELi8EfPfEviiT1_T2_llli: ; @_ZL25rocblas_symm_scale_kernelILi128ELi8EfPfEviiT1_T2_llli
; %bb.0:
	s_load_b96 s[12:14], s[0:1], 0x0
	s_wait_kmcnt 0x0
	s_cmp_eq_f32 s14, 1.0
	s_cbranch_scc1 .LBB3_10
; %bb.1:
	s_load_b32 s15, s[0:1], 0x30
	s_bfe_u32 s2, ttmp6, 0x40014
	s_lshr_b32 s3, ttmp7, 16
	s_add_co_i32 s2, s2, 1
	s_bfe_u32 s5, ttmp6, 0x40008
	s_mul_i32 s4, s3, s2
	s_getreg_b32 s2, hwreg(HW_REG_IB_STS2, 6, 4)
	s_add_co_i32 s5, s5, s4
	s_cmp_eq_u32 s2, 0
	s_cselect_b32 s18, s3, s5
	s_mov_b32 s3, 0
	s_wait_kmcnt 0x0
	s_cmp_ge_u32 s18, s15
	s_cbranch_scc1 .LBB3_10
; %bb.2:
	s_bfe_u32 s4, ttmp6, 0x40010
	s_bfe_u32 s19, ttmp6, 0x4000c
	s_add_co_i32 s17, s4, 1
	s_load_b256 s[4:11], s[0:1], 0x10
	s_and_b32 s16, ttmp7, 0xffff
	s_add_co_i32 s19, s19, 1
	s_mul_i32 s17, s16, s17
	s_bfe_u32 s20, ttmp6, 0x40004
	s_and_b32 s21, ttmp6, 15
	s_mul_i32 s19, ttmp9, s19
	s_add_co_i32 s20, s20, s17
	s_add_co_i32 s21, s21, s19
	v_bfe_u32 v1, v0, 10, 10
	s_cmp_eq_u32 s2, 0
	v_mov_b32_e32 v3, 0
	s_cselect_b32 s2, s16, s20
	v_and_b32_e32 v0, 0x3ff, v0
	v_lshl_add_u32 v2, s2, 3, v1
	s_cselect_b32 s2, ttmp9, s21
	s_ashr_i32 s17, s13, 31
	s_mov_b32 s16, s13
	v_lshl_add_u32 v0, s2, 7, v0
	v_cmp_gt_i64_e32 vcc_lo, s[16:17], v[2:3]
	s_wait_kmcnt 0x0
	v_mul_u64_e32 v[4:5], s[8:9], v[2:3]
	v_mov_b32_e32 v1, v3
	s_add_nc_u64 s[0:1], s[0:1], 56
	v_cmp_gt_u32_e64 s2, s12, v0
	s_and_b32 s12, s2, vcc_lo
	s_cmp_neq_f32 s14, 0
	s_cselect_b32 s13, -1, 0
	s_lshl_b64 s[6:7], s[6:7], 2
	s_delay_alu instid0(SALU_CYCLE_1) | instskip(SKIP_1) | instid1(VALU_DEP_1)
	v_lshl_add_u64 v[4:5], v[4:5], 2, s[6:7]
	s_lshl_b64 s[6:7], s[8:9], 2
	v_lshl_add_u64 v[0:1], v[0:1], 2, v[4:5]
	s_delay_alu instid0(VALU_DEP_1)
	v_add_nc_u64_e32 v[0:1], s[4:5], v[0:1]
	s_lshl_b64 s[4:5], s[10:11], 2
	s_branch .LBB3_4
.LBB3_3:                                ;   in Loop: Header=BB3_4 Depth=1
	s_or_b32 exec_lo, exec_lo, s10
	s_add_co_i32 s18, s18, 0x10000
	s_delay_alu instid0(SALU_CYCLE_1)
	s_cmp_lt_u32 s18, s15
	s_cbranch_scc0 .LBB3_10
.LBB3_4:                                ; =>This Loop Header: Depth=1
                                        ;     Child Loop BB3_8 Depth 2
	s_and_saveexec_b32 s10, s12
	s_cbranch_execz .LBB3_3
; %bb.5:                                ;   in Loop: Header=BB3_4 Depth=1
	s_load_b32 s2, s[0:1], 0x4
	s_delay_alu instid0(VALU_DEP_1) | instskip(SKIP_2) | instid1(VALU_DEP_2)
	v_mad_nc_u64_u32 v[4:5], s4, s18, v[0:1]
	v_mov_b64_e32 v[6:7], v[2:3]
	s_mov_b32 s11, 0
	v_mad_u32 v5, s5, s18, v5
	s_wait_kmcnt 0x0
	s_lshl_b32 s2, s2, 3
	s_delay_alu instid0(SALU_CYCLE_1)
	s_mul_u64 s[8:9], s[6:7], s[2:3]
	s_branch .LBB3_8
.LBB3_6:                                ;   in Loop: Header=BB3_8 Depth=2
	global_load_b32 v8, v[4:5], off
	s_wait_loadcnt 0x0
	v_mul_f32_e32 v8, s14, v8
.LBB3_7:                                ;   in Loop: Header=BB3_8 Depth=2
	v_add_nc_u64_e32 v[6:7], s[2:3], v[6:7]
	global_store_b32 v[4:5], v8, off
	s_wait_xcnt 0x0
	v_add_nc_u64_e32 v[4:5], s[8:9], v[4:5]
	v_cmp_le_i64_e32 vcc_lo, s[16:17], v[6:7]
	s_or_b32 s11, vcc_lo, s11
	s_delay_alu instid0(SALU_CYCLE_1)
	s_and_not1_b32 exec_lo, exec_lo, s11
	s_cbranch_execz .LBB3_3
.LBB3_8:                                ;   Parent Loop BB3_4 Depth=1
                                        ; =>  This Inner Loop Header: Depth=2
	s_and_not1_b32 vcc_lo, exec_lo, s13
	s_cbranch_vccz .LBB3_6
; %bb.9:                                ;   in Loop: Header=BB3_8 Depth=2
	v_mov_b32_e32 v8, 0
	s_branch .LBB3_7
.LBB3_10:
	s_endpgm
	.section	.rodata,"a",@progbits
	.p2align	6, 0x0
	.amdhsa_kernel _ZL25rocblas_symm_scale_kernelILi128ELi8EfPfEviiT1_T2_llli
		.amdhsa_group_segment_fixed_size 0
		.amdhsa_private_segment_fixed_size 0
		.amdhsa_kernarg_size 312
		.amdhsa_user_sgpr_count 2
		.amdhsa_user_sgpr_dispatch_ptr 0
		.amdhsa_user_sgpr_queue_ptr 0
		.amdhsa_user_sgpr_kernarg_segment_ptr 1
		.amdhsa_user_sgpr_dispatch_id 0
		.amdhsa_user_sgpr_kernarg_preload_length 0
		.amdhsa_user_sgpr_kernarg_preload_offset 0
		.amdhsa_user_sgpr_private_segment_size 0
		.amdhsa_wavefront_size32 1
		.amdhsa_uses_dynamic_stack 0
		.amdhsa_enable_private_segment 0
		.amdhsa_system_sgpr_workgroup_id_x 1
		.amdhsa_system_sgpr_workgroup_id_y 1
		.amdhsa_system_sgpr_workgroup_id_z 1
		.amdhsa_system_sgpr_workgroup_info 0
		.amdhsa_system_vgpr_workitem_id 1
		.amdhsa_next_free_vgpr 9
		.amdhsa_next_free_sgpr 22
		.amdhsa_named_barrier_count 0
		.amdhsa_reserve_vcc 1
		.amdhsa_float_round_mode_32 0
		.amdhsa_float_round_mode_16_64 0
		.amdhsa_float_denorm_mode_32 3
		.amdhsa_float_denorm_mode_16_64 3
		.amdhsa_fp16_overflow 0
		.amdhsa_memory_ordered 1
		.amdhsa_forward_progress 1
		.amdhsa_inst_pref_size 4
		.amdhsa_round_robin_scheduling 0
		.amdhsa_exception_fp_ieee_invalid_op 0
		.amdhsa_exception_fp_denorm_src 0
		.amdhsa_exception_fp_ieee_div_zero 0
		.amdhsa_exception_fp_ieee_overflow 0
		.amdhsa_exception_fp_ieee_underflow 0
		.amdhsa_exception_fp_ieee_inexact 0
		.amdhsa_exception_int_div_zero 0
	.end_amdhsa_kernel
	.section	.text._ZL25rocblas_symm_scale_kernelILi128ELi8EfPfEviiT1_T2_llli,"axG",@progbits,_ZL25rocblas_symm_scale_kernelILi128ELi8EfPfEviiT1_T2_llli,comdat
.Lfunc_end3:
	.size	_ZL25rocblas_symm_scale_kernelILi128ELi8EfPfEviiT1_T2_llli, .Lfunc_end3-_ZL25rocblas_symm_scale_kernelILi128ELi8EfPfEviiT1_T2_llli
                                        ; -- End function
	.set _ZL25rocblas_symm_scale_kernelILi128ELi8EfPfEviiT1_T2_llli.num_vgpr, 9
	.set _ZL25rocblas_symm_scale_kernelILi128ELi8EfPfEviiT1_T2_llli.num_agpr, 0
	.set _ZL25rocblas_symm_scale_kernelILi128ELi8EfPfEviiT1_T2_llli.numbered_sgpr, 22
	.set _ZL25rocblas_symm_scale_kernelILi128ELi8EfPfEviiT1_T2_llli.num_named_barrier, 0
	.set _ZL25rocblas_symm_scale_kernelILi128ELi8EfPfEviiT1_T2_llli.private_seg_size, 0
	.set _ZL25rocblas_symm_scale_kernelILi128ELi8EfPfEviiT1_T2_llli.uses_vcc, 1
	.set _ZL25rocblas_symm_scale_kernelILi128ELi8EfPfEviiT1_T2_llli.uses_flat_scratch, 0
	.set _ZL25rocblas_symm_scale_kernelILi128ELi8EfPfEviiT1_T2_llli.has_dyn_sized_stack, 0
	.set _ZL25rocblas_symm_scale_kernelILi128ELi8EfPfEviiT1_T2_llli.has_recursion, 0
	.set _ZL25rocblas_symm_scale_kernelILi128ELi8EfPfEviiT1_T2_llli.has_indirect_call, 0
	.section	.AMDGPU.csdata,"",@progbits
; Kernel info:
; codeLenInByte = 468
; TotalNumSgprs: 24
; NumVgprs: 9
; ScratchSize: 0
; MemoryBound: 0
; FloatMode: 240
; IeeeMode: 1
; LDSByteSize: 0 bytes/workgroup (compile time only)
; SGPRBlocks: 0
; VGPRBlocks: 0
; NumSGPRsForWavesPerEU: 24
; NumVGPRsForWavesPerEU: 9
; NamedBarCnt: 0
; Occupancy: 16
; WaveLimiterHint : 0
; COMPUTE_PGM_RSRC2:SCRATCH_EN: 0
; COMPUTE_PGM_RSRC2:USER_SGPR: 2
; COMPUTE_PGM_RSRC2:TRAP_HANDLER: 0
; COMPUTE_PGM_RSRC2:TGID_X_EN: 1
; COMPUTE_PGM_RSRC2:TGID_Y_EN: 1
; COMPUTE_PGM_RSRC2:TGID_Z_EN: 1
; COMPUTE_PGM_RSRC2:TIDIG_COMP_CNT: 1
	.section	.text._ZL24rocblas_symm_hemm_kernelILb0ELb0ELi32EfPKfPfEvbiiT2_T3_lllS4_lllT4_llli,"axG",@progbits,_ZL24rocblas_symm_hemm_kernelILb0ELb0ELi32EfPKfPfEvbiiT2_T3_lllS4_lllT4_llli,comdat
	.globl	_ZL24rocblas_symm_hemm_kernelILb0ELb0ELi32EfPKfPfEvbiiT2_T3_lllS4_lllT4_llli ; -- Begin function _ZL24rocblas_symm_hemm_kernelILb0ELb0ELi32EfPKfPfEvbiiT2_T3_lllS4_lllT4_llli
	.p2align	8
	.type	_ZL24rocblas_symm_hemm_kernelILb0ELb0ELi32EfPKfPfEvbiiT2_T3_lllS4_lllT4_llli,@function
_ZL24rocblas_symm_hemm_kernelILb0ELb0ELi32EfPKfPfEvbiiT2_T3_lllS4_lllT4_llli: ; @_ZL24rocblas_symm_hemm_kernelILb0ELb0ELi32EfPKfPfEvbiiT2_T3_lllS4_lllT4_llli
; %bb.0:
	s_load_b128 s[28:31], s[0:1], 0x0
	s_wait_kmcnt 0x0
	s_cmp_eq_f32 s31, 0
	s_cbranch_scc1 .LBB4_16
; %bb.1:
	s_load_b32 s33, s[0:1], 0x70
	s_bfe_u32 s2, ttmp6, 0x40014
	s_lshr_b32 s4, ttmp7, 16
	s_add_co_i32 s2, s2, 1
	s_bfe_u32 s5, ttmp6, 0x40008
	s_mul_i32 s2, s4, s2
	s_getreg_b32 s3, hwreg(HW_REG_IB_STS2, 6, 4)
	s_add_co_i32 s5, s5, s2
	s_cmp_eq_u32 s3, 0
	s_cselect_b32 s34, s4, s5
	s_wait_kmcnt 0x0
	s_cmp_ge_u32 s34, s33
	s_cbranch_scc1 .LBB4_16
; %bb.2:
	s_clause 0x1
	s_load_b512 s[4:19], s[0:1], 0x10
	s_load_b256 s[20:27], s[0:1], 0x50
	v_bfe_u32 v14, v0, 10, 10
	v_and_b32_e32 v15, 0x3ff, v0
	s_delay_alu instid0(VALU_DEP_1) | instskip(NEXT) | instid1(VALU_DEP_1)
	v_dual_lshlrev_b32 v0, 2, v14 :: v_dual_lshlrev_b32 v16, 7, v15
	v_or_b32_e32 v17, 0x1000, v0
	s_delay_alu instid0(VALU_DEP_2) | instskip(NEXT) | instid1(VALU_DEP_2)
	v_add_nc_u32_e32 v18, v16, v0
	v_add_nc_u32_e32 v19, v17, v16
	;; [unrolled: 1-line block ×4, first 2 shown]
	s_wait_kmcnt 0x0
	s_lshl_b64 s[6:7], s[6:7], 2
	s_lshl_b64 s[14:15], s[14:15], 2
	s_bitcmp1_b32 s28, 0
	s_add_nc_u64 s[4:5], s[4:5], s[6:7]
	s_cselect_b32 s2, -1, 0
	s_lshl_b64 s[36:37], s[22:23], 2
	s_add_co_i32 s22, s30, -1
	s_bfe_u32 s28, ttmp6, 0x4000c
	s_bfe_u32 s38, ttmp6, 0x40010
	s_ashr_i32 s40, s22, 31
	s_and_b32 s35, ttmp7, 0xffff
	s_add_co_i32 s28, s28, 1
	s_add_co_i32 s38, s38, 1
	s_lshr_b32 s40, s40, 27
	s_and_b32 s23, ttmp6, 15
	s_bfe_u32 s39, ttmp6, 0x40004
	s_mul_i32 s28, ttmp9, s28
	s_mul_i32 s38, s35, s38
	s_add_co_i32 s22, s22, s40
	s_add_co_i32 s23, s23, s28
	;; [unrolled: 1-line block ×3, first 2 shown]
	s_ashr_i32 s22, s22, 5
	s_cmp_eq_u32 s3, 0
	s_add_nc_u64 s[6:7], s[20:21], s[36:37]
	s_cselect_b32 s3, ttmp9, s23
	s_cselect_b32 s23, s35, s39
	v_lshl_add_u32 v0, s3, 5, v15
	s_cmp_le_i32 s23, s22
	s_mov_b32 s35, 0
	s_cselect_b32 s28, -1, 0
	s_cmp_gt_i32 s29, 0
	v_ashrrev_i32_e32 v1, 31, v0
	v_cmp_gt_i32_e64 s3, s29, v0
	s_cselect_b32 s36, -1, 0
	v_lshl_add_u64 v[2:3], v[0:1], 2, s[6:7]
	v_add_nc_u32_e32 v1, 0xc00, v17
	s_add_nc_u64 s[6:7], s[12:13], s[14:15]
	s_add_nc_u64 s[12:13], s[0:1], 0x78
	s_branch .LBB4_4
.LBB4_3:                                ;   in Loop: Header=BB4_4 Depth=1
	s_add_co_i32 s34, s34, 0x10000
	s_delay_alu instid0(SALU_CYCLE_1)
	s_cmp_lt_u32 s34, s33
	s_cbranch_scc0 .LBB4_16
.LBB4_4:                                ; =>This Loop Header: Depth=1
                                        ;     Child Loop BB4_7 Depth 2
                                        ;       Child Loop BB4_10 Depth 3
	s_and_not1_b32 vcc_lo, exec_lo, s28
	s_cbranch_vccnz .LBB4_3
; %bb.5:                                ;   in Loop: Header=BB4_4 Depth=1
	s_load_b32 s1, s[12:13], 0x4
	s_mul_u64 s[38:39], s[26:27], s[34:35]
	s_mul_u64 s[14:15], s[10:11], s[34:35]
	;; [unrolled: 1-line block ×3, first 2 shown]
	v_lshl_add_u64 v[4:5], s[38:39], 2, v[2:3]
	s_lshl_b64 s[14:15], s[14:15], 2
	s_lshl_b64 s[20:21], s[20:21], 2
	s_add_nc_u64 s[14:15], s[4:5], s[14:15]
	s_add_nc_u64 s[20:21], s[6:7], s[20:21]
	s_mov_b32 s37, s23
	s_branch .LBB4_7
.LBB4_6:                                ;   in Loop: Header=BB4_7 Depth=2
	s_wait_kmcnt 0x0
	s_add_co_i32 s37, s37, s1
	s_delay_alu instid0(SALU_CYCLE_1)
	s_cmp_gt_i32 s37, s22
	s_cbranch_scc1 .LBB4_3
.LBB4_7:                                ;   Parent Loop BB4_4 Depth=1
                                        ; =>  This Loop Header: Depth=2
                                        ;       Child Loop BB4_10 Depth 3
	s_and_not1_b32 vcc_lo, exec_lo, s36
	s_cbranch_vccnz .LBB4_6
; %bb.8:                                ;   in Loop: Header=BB4_7 Depth=2
	v_lshl_add_u32 v6, s37, 5, v14
	s_mov_b32 s39, 0
	s_delay_alu instid0(VALU_DEP_1) | instskip(SKIP_1) | instid1(VALU_DEP_2)
	v_ashrrev_i32_e32 v7, 31, v6
	v_cmp_gt_i32_e32 vcc_lo, s30, v6
	v_mul_u64_e32 v[8:9], s[16:17], v[6:7]
	v_mul_u64_e32 v[10:11], s[24:25], v[6:7]
	s_and_b32 s38, s3, vcc_lo
	s_delay_alu instid0(VALU_DEP_2) | instskip(NEXT) | instid1(VALU_DEP_2)
	v_lshl_add_u64 v[6:7], v[8:9], 2, s[20:21]
	v_lshl_add_u64 v[8:9], v[10:11], 2, v[4:5]
	s_branch .LBB4_10
.LBB4_9:                                ;   in Loop: Header=BB4_10 Depth=3
	s_wait_xcnt 0x0
	s_or_b32 exec_lo, exec_lo, s0
	s_add_co_i32 s39, s39, 32
	s_wait_storecnt 0x0
	s_cmp_ge_i32 s39, s29
	s_barrier_signal -1
	s_barrier_wait -1
	s_cbranch_scc1 .LBB4_6
.LBB4_10:                               ;   Parent Loop BB4_4 Depth=1
                                        ;     Parent Loop BB4_7 Depth=2
                                        ; =>    This Inner Loop Header: Depth=3
	v_dual_mov_b32 v22, 0 :: v_dual_add_nc_u32 v11, s39, v14
	s_delay_alu instid0(VALU_DEP_1) | instskip(NEXT) | instid1(VALU_DEP_1)
	v_dual_cndmask_b32 v10, v11, v0, s2 :: v_dual_cndmask_b32 v12, v0, v11, s2
	v_cmp_gt_i32_e64 s0, v10, v12
	s_delay_alu instid0(VALU_DEP_1) | instskip(NEXT) | instid1(VALU_DEP_1)
	v_dual_cndmask_b32 v10, v0, v11, s0 :: v_dual_cndmask_b32 v12, v11, v0, s0
	v_max_i32_e32 v11, v10, v12
	s_delay_alu instid0(VALU_DEP_1)
	v_cmp_gt_i32_e64 s0, s29, v11
	v_mov_b32_e32 v11, 0
	s_and_saveexec_b32 s40, s0
	s_cbranch_execz .LBB4_12
; %bb.11:                               ;   in Loop: Header=BB4_10 Depth=3
	v_dual_ashrrev_i32 v13, 31, v12 :: v_dual_ashrrev_i32 v11, 31, v10
	s_delay_alu instid0(VALU_DEP_1) | instskip(NEXT) | instid1(VALU_DEP_1)
	v_mul_u64_e32 v[12:13], s[8:9], v[12:13]
	v_lshl_add_u64 v[12:13], v[12:13], 2, s[14:15]
	s_delay_alu instid0(VALU_DEP_1)
	v_lshl_add_u64 v[10:11], v[10:11], 2, v[12:13]
	global_load_b32 v11, v[10:11], off
.LBB4_12:                               ;   in Loop: Header=BB4_10 Depth=3
	s_wait_xcnt 0x0
	s_or_b32 exec_lo, exec_lo, s40
	v_add_nc_u32_e32 v10, s39, v15
	s_wait_loadcnt 0x0
	ds_store_b32 v18, v11
	v_cmp_gt_i32_e64 s0, s29, v10
	s_and_b32 s40, s0, vcc_lo
	s_delay_alu instid0(SALU_CYCLE_1)
	s_and_saveexec_b32 s0, s40
	s_cbranch_execz .LBB4_14
; %bb.13:                               ;   in Loop: Header=BB4_10 Depth=3
	v_ashrrev_i32_e32 v11, 31, v10
	s_delay_alu instid0(VALU_DEP_1)
	v_lshl_add_u64 v[10:11], v[10:11], 2, v[6:7]
	global_load_b32 v22, v[10:11], off
.LBB4_14:                               ;   in Loop: Header=BB4_10 Depth=3
	s_wait_xcnt 0x0
	s_or_b32 exec_lo, exec_lo, s0
	s_wait_loadcnt 0x0
	ds_store_b32 v19, v22
	s_wait_dscnt 0x0
	s_barrier_signal -1
	s_barrier_wait -1
	s_and_saveexec_b32 s0, s38
	s_cbranch_execz .LBB4_9
; %bb.15:                               ;   in Loop: Header=BB4_10 Depth=3
	global_load_b32 v32, v[8:9], off
	ds_load_b128 v[10:13], v16
	ds_load_2addr_b32 v[26:27], v17 offset1:32
	ds_load_2addr_b32 v[28:29], v17 offset0:64 offset1:96
	ds_load_b128 v[22:25], v16 offset:16
	ds_load_2addr_b32 v[30:31], v17 offset0:128 offset1:160
	s_wait_dscnt 0x3
	v_fma_f32 v33, v10, v26, 0
	s_delay_alu instid0(VALU_DEP_1) | instskip(SKIP_3) | instid1(VALU_DEP_1)
	v_fmac_f32_e32 v33, v11, v27
	ds_load_2addr_b32 v[26:27], v17 offset0:192 offset1:224
	s_wait_dscnt 0x3
	v_fmac_f32_e32 v33, v12, v28
	v_fmac_f32_e32 v33, v13, v29
	ds_load_b128 v[10:13], v16 offset:32
	ds_load_2addr_b32 v[28:29], v20 offset1:32
	s_wait_dscnt 0x3
	v_fmac_f32_e32 v33, v22, v30
	s_delay_alu instid0(VALU_DEP_1) | instskip(SKIP_3) | instid1(VALU_DEP_1)
	v_fmac_f32_e32 v33, v23, v31
	ds_load_2addr_b32 v[30:31], v20 offset0:64 offset1:96
	s_wait_dscnt 0x3
	v_fmac_f32_e32 v33, v24, v26
	v_fmac_f32_e32 v33, v25, v27
	ds_load_b128 v[22:25], v16 offset:48
	ds_load_2addr_b32 v[26:27], v20 offset0:128 offset1:160
	s_wait_dscnt 0x3
	v_fmac_f32_e32 v33, v10, v28
	s_delay_alu instid0(VALU_DEP_1) | instskip(SKIP_3) | instid1(VALU_DEP_1)
	v_fmac_f32_e32 v33, v11, v29
	ds_load_2addr_b32 v[28:29], v20 offset0:192 offset1:224
	s_wait_dscnt 0x3
	v_fmac_f32_e32 v33, v12, v30
	v_fmac_f32_e32 v33, v13, v31
	ds_load_b128 v[10:13], v16 offset:64
	ds_load_2addr_b32 v[30:31], v21 offset1:32
	s_wait_dscnt 0x3
	v_fmac_f32_e32 v33, v22, v26
	s_delay_alu instid0(VALU_DEP_1) | instskip(SKIP_3) | instid1(VALU_DEP_1)
	v_fmac_f32_e32 v33, v23, v27
	ds_load_2addr_b32 v[26:27], v21 offset0:64 offset1:96
	s_wait_dscnt 0x3
	v_fmac_f32_e32 v33, v24, v28
	v_fmac_f32_e32 v33, v25, v29
	ds_load_b128 v[22:25], v16 offset:80
	ds_load_2addr_b32 v[28:29], v21 offset0:128 offset1:160
	s_wait_dscnt 0x3
	v_fmac_f32_e32 v33, v10, v30
	s_delay_alu instid0(VALU_DEP_1) | instskip(SKIP_3) | instid1(VALU_DEP_1)
	v_fmac_f32_e32 v33, v11, v31
	ds_load_2addr_b32 v[30:31], v21 offset0:192 offset1:224
	s_wait_dscnt 0x3
	v_fmac_f32_e32 v33, v12, v26
	v_fmac_f32_e32 v33, v13, v27
	ds_load_2addr_b32 v[26:27], v1 offset1:32
	ds_load_b128 v[10:13], v16 offset:96
	s_wait_dscnt 0x3
	v_fmac_f32_e32 v33, v22, v28
	s_delay_alu instid0(VALU_DEP_1) | instskip(SKIP_4) | instid1(VALU_DEP_1)
	v_fmac_f32_e32 v33, v23, v29
	s_wait_dscnt 0x2
	v_pk_mul_f32 v[22:23], v[24:25], v[30:31]
	ds_load_2addr_b32 v[28:29], v1 offset0:64 offset1:96
	v_add_f32_e32 v22, v33, v22
	v_add_f32_e32 v30, v22, v23
	ds_load_b128 v[22:25], v16 offset:112
	s_wait_dscnt 0x2
	v_pk_mul_f32 v[10:11], v[10:11], v[26:27]
	ds_load_2addr_b32 v[26:27], v1 offset0:128 offset1:160
	v_add_f32_e32 v10, v30, v10
	s_delay_alu instid0(VALU_DEP_1) | instskip(SKIP_4) | instid1(VALU_DEP_1)
	v_add_f32_e32 v30, v10, v11
	s_wait_dscnt 0x2
	v_pk_mul_f32 v[10:11], v[12:13], v[28:29]
	ds_load_2addr_b32 v[12:13], v1 offset0:192 offset1:224
	v_add_f32_e32 v10, v30, v10
	v_add_f32_e32 v28, v10, v11
	s_wait_dscnt 0x1
	v_pk_mul_f32 v[10:11], v[22:23], v[26:27]
	s_delay_alu instid0(VALU_DEP_1) | instskip(NEXT) | instid1(VALU_DEP_1)
	v_add_f32_e32 v10, v28, v10
	v_add_f32_e32 v22, v10, v11
	s_wait_dscnt 0x0
	v_pk_mul_f32 v[10:11], v[24:25], v[12:13]
	s_delay_alu instid0(VALU_DEP_1) | instskip(NEXT) | instid1(VALU_DEP_1)
	v_add_f32_e32 v10, v22, v10
	v_add_f32_e32 v10, v10, v11
	s_wait_loadcnt 0x0
	s_delay_alu instid0(VALU_DEP_1)
	v_fmac_f32_e32 v32, s31, v10
	global_store_b32 v[8:9], v32, off
	s_branch .LBB4_9
.LBB4_16:
	s_endpgm
	.section	.rodata,"a",@progbits
	.p2align	6, 0x0
	.amdhsa_kernel _ZL24rocblas_symm_hemm_kernelILb0ELb0ELi32EfPKfPfEvbiiT2_T3_lllS4_lllT4_llli
		.amdhsa_group_segment_fixed_size 8192
		.amdhsa_private_segment_fixed_size 0
		.amdhsa_kernarg_size 376
		.amdhsa_user_sgpr_count 2
		.amdhsa_user_sgpr_dispatch_ptr 0
		.amdhsa_user_sgpr_queue_ptr 0
		.amdhsa_user_sgpr_kernarg_segment_ptr 1
		.amdhsa_user_sgpr_dispatch_id 0
		.amdhsa_user_sgpr_kernarg_preload_length 0
		.amdhsa_user_sgpr_kernarg_preload_offset 0
		.amdhsa_user_sgpr_private_segment_size 0
		.amdhsa_wavefront_size32 1
		.amdhsa_uses_dynamic_stack 0
		.amdhsa_enable_private_segment 0
		.amdhsa_system_sgpr_workgroup_id_x 1
		.amdhsa_system_sgpr_workgroup_id_y 1
		.amdhsa_system_sgpr_workgroup_id_z 1
		.amdhsa_system_sgpr_workgroup_info 0
		.amdhsa_system_vgpr_workitem_id 1
		.amdhsa_next_free_vgpr 34
		.amdhsa_next_free_sgpr 41
		.amdhsa_named_barrier_count 0
		.amdhsa_reserve_vcc 1
		.amdhsa_float_round_mode_32 0
		.amdhsa_float_round_mode_16_64 0
		.amdhsa_float_denorm_mode_32 3
		.amdhsa_float_denorm_mode_16_64 3
		.amdhsa_fp16_overflow 0
		.amdhsa_memory_ordered 1
		.amdhsa_forward_progress 1
		.amdhsa_inst_pref_size 11
		.amdhsa_round_robin_scheduling 0
		.amdhsa_exception_fp_ieee_invalid_op 0
		.amdhsa_exception_fp_denorm_src 0
		.amdhsa_exception_fp_ieee_div_zero 0
		.amdhsa_exception_fp_ieee_overflow 0
		.amdhsa_exception_fp_ieee_underflow 0
		.amdhsa_exception_fp_ieee_inexact 0
		.amdhsa_exception_int_div_zero 0
	.end_amdhsa_kernel
	.section	.text._ZL24rocblas_symm_hemm_kernelILb0ELb0ELi32EfPKfPfEvbiiT2_T3_lllS4_lllT4_llli,"axG",@progbits,_ZL24rocblas_symm_hemm_kernelILb0ELb0ELi32EfPKfPfEvbiiT2_T3_lllS4_lllT4_llli,comdat
.Lfunc_end4:
	.size	_ZL24rocblas_symm_hemm_kernelILb0ELb0ELi32EfPKfPfEvbiiT2_T3_lllS4_lllT4_llli, .Lfunc_end4-_ZL24rocblas_symm_hemm_kernelILb0ELb0ELi32EfPKfPfEvbiiT2_T3_lllS4_lllT4_llli
                                        ; -- End function
	.set _ZL24rocblas_symm_hemm_kernelILb0ELb0ELi32EfPKfPfEvbiiT2_T3_lllS4_lllT4_llli.num_vgpr, 34
	.set _ZL24rocblas_symm_hemm_kernelILb0ELb0ELi32EfPKfPfEvbiiT2_T3_lllS4_lllT4_llli.num_agpr, 0
	.set _ZL24rocblas_symm_hemm_kernelILb0ELb0ELi32EfPKfPfEvbiiT2_T3_lllS4_lllT4_llli.numbered_sgpr, 41
	.set _ZL24rocblas_symm_hemm_kernelILb0ELb0ELi32EfPKfPfEvbiiT2_T3_lllS4_lllT4_llli.num_named_barrier, 0
	.set _ZL24rocblas_symm_hemm_kernelILb0ELb0ELi32EfPKfPfEvbiiT2_T3_lllS4_lllT4_llli.private_seg_size, 0
	.set _ZL24rocblas_symm_hemm_kernelILb0ELb0ELi32EfPKfPfEvbiiT2_T3_lllS4_lllT4_llli.uses_vcc, 1
	.set _ZL24rocblas_symm_hemm_kernelILb0ELb0ELi32EfPKfPfEvbiiT2_T3_lllS4_lllT4_llli.uses_flat_scratch, 0
	.set _ZL24rocblas_symm_hemm_kernelILb0ELb0ELi32EfPKfPfEvbiiT2_T3_lllS4_lllT4_llli.has_dyn_sized_stack, 0
	.set _ZL24rocblas_symm_hemm_kernelILb0ELb0ELi32EfPKfPfEvbiiT2_T3_lllS4_lllT4_llli.has_recursion, 0
	.set _ZL24rocblas_symm_hemm_kernelILb0ELb0ELi32EfPKfPfEvbiiT2_T3_lllS4_lllT4_llli.has_indirect_call, 0
	.section	.AMDGPU.csdata,"",@progbits
; Kernel info:
; codeLenInByte = 1320
; TotalNumSgprs: 43
; NumVgprs: 34
; ScratchSize: 0
; MemoryBound: 0
; FloatMode: 240
; IeeeMode: 1
; LDSByteSize: 8192 bytes/workgroup (compile time only)
; SGPRBlocks: 0
; VGPRBlocks: 2
; NumSGPRsForWavesPerEU: 43
; NumVGPRsForWavesPerEU: 34
; NamedBarCnt: 0
; Occupancy: 16
; WaveLimiterHint : 0
; COMPUTE_PGM_RSRC2:SCRATCH_EN: 0
; COMPUTE_PGM_RSRC2:USER_SGPR: 2
; COMPUTE_PGM_RSRC2:TRAP_HANDLER: 0
; COMPUTE_PGM_RSRC2:TGID_X_EN: 1
; COMPUTE_PGM_RSRC2:TGID_Y_EN: 1
; COMPUTE_PGM_RSRC2:TGID_Z_EN: 1
; COMPUTE_PGM_RSRC2:TIDIG_COMP_CNT: 1
	.section	.text._ZL24rocblas_symm_hemm_kernelILb0ELb1ELi32EfPKfPfEvbiiT2_T3_lllS4_lllT4_llli,"axG",@progbits,_ZL24rocblas_symm_hemm_kernelILb0ELb1ELi32EfPKfPfEvbiiT2_T3_lllS4_lllT4_llli,comdat
	.globl	_ZL24rocblas_symm_hemm_kernelILb0ELb1ELi32EfPKfPfEvbiiT2_T3_lllS4_lllT4_llli ; -- Begin function _ZL24rocblas_symm_hemm_kernelILb0ELb1ELi32EfPKfPfEvbiiT2_T3_lllS4_lllT4_llli
	.p2align	8
	.type	_ZL24rocblas_symm_hemm_kernelILb0ELb1ELi32EfPKfPfEvbiiT2_T3_lllS4_lllT4_llli,@function
_ZL24rocblas_symm_hemm_kernelILb0ELb1ELi32EfPKfPfEvbiiT2_T3_lllS4_lllT4_llli: ; @_ZL24rocblas_symm_hemm_kernelILb0ELb1ELi32EfPKfPfEvbiiT2_T3_lllS4_lllT4_llli
; %bb.0:
	s_load_b128 s[28:31], s[0:1], 0x0
	s_wait_kmcnt 0x0
	s_cmp_eq_f32 s31, 0
	s_cbranch_scc1 .LBB5_16
; %bb.1:
	s_load_b32 s33, s[0:1], 0x70
	s_bfe_u32 s2, ttmp6, 0x40014
	s_lshr_b32 s4, ttmp7, 16
	s_add_co_i32 s2, s2, 1
	s_bfe_u32 s5, ttmp6, 0x40008
	s_mul_i32 s2, s4, s2
	s_getreg_b32 s3, hwreg(HW_REG_IB_STS2, 6, 4)
	s_add_co_i32 s5, s5, s2
	s_cmp_eq_u32 s3, 0
	s_cselect_b32 s34, s4, s5
	s_wait_kmcnt 0x0
	s_cmp_ge_u32 s34, s33
	s_cbranch_scc1 .LBB5_16
; %bb.2:
	s_clause 0x1
	s_load_b512 s[4:19], s[0:1], 0x10
	s_load_b256 s[20:27], s[0:1], 0x50
	v_bfe_u32 v16, v0, 10, 10
	v_and_b32_e32 v17, 0x3ff, v0
	s_wait_xcnt 0x0
	s_add_nc_u64 s[0:1], s[0:1], 0x78
	s_delay_alu instid0(VALU_DEP_1) | instskip(NEXT) | instid1(VALU_DEP_1)
	v_dual_lshlrev_b32 v1, 2, v16 :: v_dual_lshlrev_b32 v18, 7, v17
	v_or_b32_e32 v19, 0x1000, v1
	s_delay_alu instid0(VALU_DEP_1)
	v_dual_add_nc_u32 v20, v18, v1 :: v_dual_add_nc_u32 v21, v19, v18
	v_add_nc_u32_e32 v22, 0x400, v19
	v_add_nc_u32_e32 v23, 0x800, v19
	s_wait_kmcnt 0x0
	s_lshl_b64 s[6:7], s[6:7], 2
	s_bitcmp1_b32 s28, 0
	v_add_nc_u32_e32 v24, 0xc00, v19
	s_cselect_b32 s2, -1, 0
	s_lshl_b64 s[36:37], s[14:15], 2
	s_add_co_i32 s14, s30, -1
	s_bfe_u32 s28, ttmp6, 0x4000c
	s_bfe_u32 s38, ttmp6, 0x40010
	s_ashr_i32 s40, s14, 31
	s_and_b32 s35, ttmp7, 0xffff
	s_add_co_i32 s28, s28, 1
	s_add_co_i32 s38, s38, 1
	s_lshr_b32 s40, s40, 27
	s_and_b32 s15, ttmp6, 15
	s_bfe_u32 s39, ttmp6, 0x40004
	s_mul_i32 s28, ttmp9, s28
	s_mul_i32 s38, s35, s38
	s_add_co_i32 s14, s14, s40
	s_lshl_b64 s[22:23], s[22:23], 2
	s_add_co_i32 s15, s15, s28
	s_add_co_i32 s39, s39, s38
	s_ashr_i32 s14, s14, 5
	s_cmp_eq_u32 s3, 0
	s_add_nc_u64 s[36:37], s[12:13], s[36:37]
	s_cselect_b32 s3, ttmp9, s15
	s_add_nc_u64 s[20:21], s[20:21], s[22:23]
	v_lshl_add_u32 v0, s3, 5, v17
	s_cselect_b32 s12, s35, s39
	s_add_nc_u64 s[4:5], s[4:5], s[6:7]
	s_cmp_le_i32 s12, s14
	s_mov_b32 s35, 0
	v_ashrrev_i32_e32 v1, 31, v0
	v_cmp_gt_i32_e64 s3, s29, v0
	s_cselect_b32 s13, -1, 0
	s_cmp_gt_i32 s30, 0
	v_lshlrev_b64_e32 v[2:3], 2, v[0:1]
	s_cselect_b32 s15, -1, 0
	s_delay_alu instid0(VALU_DEP_1)
	v_add_nc_u64_e32 v[0:1], s[36:37], v[2:3]
	v_add_nc_u64_e32 v[2:3], s[20:21], v[2:3]
	s_branch .LBB5_4
.LBB5_3:                                ;   in Loop: Header=BB5_4 Depth=1
	s_add_co_i32 s34, s34, 0x10000
	s_delay_alu instid0(SALU_CYCLE_1)
	s_cmp_lt_u32 s34, s33
	s_cbranch_scc0 .LBB5_16
.LBB5_4:                                ; =>This Loop Header: Depth=1
                                        ;     Child Loop BB5_7 Depth 2
                                        ;       Child Loop BB5_10 Depth 3
	s_and_not1_b32 vcc_lo, exec_lo, s13
	s_cbranch_vccnz .LBB5_3
; %bb.5:                                ;   in Loop: Header=BB5_4 Depth=1
	s_load_b32 s20, s[0:1], 0x4
	s_mul_u64 s[22:23], s[18:19], s[34:35]
	s_mul_u64 s[28:29], s[26:27], s[34:35]
	;; [unrolled: 1-line block ×3, first 2 shown]
	v_lshl_add_u64 v[4:5], s[22:23], 2, v[0:1]
	v_lshl_add_u64 v[6:7], s[28:29], 2, v[2:3]
	s_lshl_b64 s[6:7], s[6:7], 2
	s_mov_b32 s21, s12
	s_add_nc_u64 s[6:7], s[4:5], s[6:7]
	s_branch .LBB5_7
.LBB5_6:                                ;   in Loop: Header=BB5_7 Depth=2
	s_wait_kmcnt 0x0
	s_add_co_i32 s21, s21, s20
	s_delay_alu instid0(SALU_CYCLE_1)
	s_cmp_gt_i32 s21, s14
	s_cbranch_scc1 .LBB5_3
.LBB5_7:                                ;   Parent Loop BB5_4 Depth=1
                                        ; =>  This Loop Header: Depth=2
                                        ;       Child Loop BB5_10 Depth 3
	s_and_not1_b32 vcc_lo, exec_lo, s15
	s_cbranch_vccnz .LBB5_6
; %bb.8:                                ;   in Loop: Header=BB5_7 Depth=2
	v_lshl_add_u32 v8, s21, 5, v16
	s_mov_b32 s23, 0
	s_delay_alu instid0(VALU_DEP_1) | instskip(SKIP_1) | instid1(VALU_DEP_2)
	v_ashrrev_i32_e32 v9, 31, v8
	v_cmp_gt_i32_e32 vcc_lo, s30, v8
	v_mul_u64_e32 v[10:11], s[24:25], v[8:9]
	s_and_b32 s22, s3, vcc_lo
	s_delay_alu instid0(VALU_DEP_1)
	v_lshl_add_u64 v[10:11], v[10:11], 2, v[6:7]
	s_branch .LBB5_10
.LBB5_9:                                ;   in Loop: Header=BB5_10 Depth=3
	s_wait_xcnt 0x0
	s_or_b32 exec_lo, exec_lo, s28
	s_add_co_i32 s23, s23, 32
	s_wait_storecnt 0x0
	s_cmp_ge_i32 s23, s30
	s_barrier_signal -1
	s_barrier_wait -1
	s_cbranch_scc1 .LBB5_6
.LBB5_10:                               ;   Parent Loop BB5_4 Depth=1
                                        ;     Parent Loop BB5_7 Depth=2
                                        ; =>    This Inner Loop Header: Depth=3
	v_dual_mov_b32 v9, 0 :: v_dual_add_nc_u32 v12, s23, v16
	v_mov_b32_e32 v13, 0
	s_delay_alu instid0(VALU_DEP_2) | instskip(SKIP_1) | instid1(SALU_CYCLE_1)
	v_cmp_gt_i32_e32 vcc_lo, s30, v12
	s_and_b32 s29, s3, vcc_lo
	s_and_saveexec_b32 s28, s29
	s_cbranch_execz .LBB5_12
; %bb.11:                               ;   in Loop: Header=BB5_10 Depth=3
	v_ashrrev_i32_e32 v13, 31, v12
	s_delay_alu instid0(VALU_DEP_1) | instskip(NEXT) | instid1(VALU_DEP_1)
	v_mul_u64_e32 v[12:13], s[16:17], v[12:13]
	v_lshl_add_u64 v[12:13], v[12:13], 2, v[4:5]
	global_load_b32 v13, v[12:13], off
.LBB5_12:                               ;   in Loop: Header=BB5_10 Depth=3
	s_wait_xcnt 0x0
	s_or_b32 exec_lo, exec_lo, s28
	v_add_nc_u32_e32 v14, s23, v17
	s_mov_b32 s28, exec_lo
	s_wait_loadcnt 0x0
	ds_store_b32 v20, v13
	v_dual_cndmask_b32 v12, v8, v14, s2 :: v_dual_cndmask_b32 v15, v14, v8, s2
	s_delay_alu instid0(VALU_DEP_1) | instskip(SKIP_1) | instid1(VALU_DEP_1)
	v_cmp_gt_i32_e32 vcc_lo, v12, v15
	v_dual_cndmask_b32 v12, v14, v8, vcc_lo :: v_dual_cndmask_b32 v14, v8, v14, vcc_lo
	v_max_i32_e32 v15, v12, v14
	s_delay_alu instid0(VALU_DEP_1)
	v_cmpx_gt_i32_e64 s30, v15
	s_cbranch_execz .LBB5_14
; %bb.13:                               ;   in Loop: Header=BB5_10 Depth=3
	v_dual_ashrrev_i32 v15, 31, v14 :: v_dual_ashrrev_i32 v13, 31, v12
	s_delay_alu instid0(VALU_DEP_1) | instskip(NEXT) | instid1(VALU_DEP_1)
	v_mul_u64_e32 v[14:15], s[8:9], v[14:15]
	v_lshl_add_u64 v[14:15], v[14:15], 2, s[6:7]
	s_delay_alu instid0(VALU_DEP_1)
	v_lshl_add_u64 v[12:13], v[12:13], 2, v[14:15]
	global_load_b32 v9, v[12:13], off
.LBB5_14:                               ;   in Loop: Header=BB5_10 Depth=3
	s_wait_xcnt 0x0
	s_or_b32 exec_lo, exec_lo, s28
	s_wait_loadcnt 0x0
	ds_store_b32 v21, v9
	s_wait_dscnt 0x0
	s_barrier_signal -1
	s_barrier_wait -1
	s_and_saveexec_b32 s28, s22
	s_cbranch_execz .LBB5_9
; %bb.15:                               ;   in Loop: Header=BB5_10 Depth=3
	global_load_b32 v9, v[10:11], off
	ds_load_b128 v[12:15], v18
	ds_load_2addr_b32 v[30:31], v19 offset1:32
	ds_load_2addr_b32 v[32:33], v19 offset0:64 offset1:96
	ds_load_b128 v[26:29], v18 offset:16
	ds_load_2addr_b32 v[34:35], v19 offset0:128 offset1:160
	s_wait_dscnt 0x3
	v_fma_f32 v25, v12, v30, 0
	s_delay_alu instid0(VALU_DEP_1) | instskip(SKIP_3) | instid1(VALU_DEP_1)
	v_fmac_f32_e32 v25, v13, v31
	ds_load_2addr_b32 v[30:31], v19 offset0:192 offset1:224
	s_wait_dscnt 0x3
	v_fmac_f32_e32 v25, v14, v32
	v_fmac_f32_e32 v25, v15, v33
	ds_load_b128 v[12:15], v18 offset:32
	ds_load_2addr_b32 v[32:33], v22 offset1:32
	s_wait_dscnt 0x3
	v_fmac_f32_e32 v25, v26, v34
	s_delay_alu instid0(VALU_DEP_1) | instskip(SKIP_3) | instid1(VALU_DEP_1)
	v_fmac_f32_e32 v25, v27, v35
	ds_load_2addr_b32 v[34:35], v22 offset0:64 offset1:96
	s_wait_dscnt 0x3
	v_fmac_f32_e32 v25, v28, v30
	v_fmac_f32_e32 v25, v29, v31
	ds_load_b128 v[26:29], v18 offset:48
	ds_load_2addr_b32 v[30:31], v22 offset0:128 offset1:160
	s_wait_dscnt 0x3
	v_fmac_f32_e32 v25, v12, v32
	s_delay_alu instid0(VALU_DEP_1) | instskip(SKIP_3) | instid1(VALU_DEP_1)
	v_fmac_f32_e32 v25, v13, v33
	ds_load_2addr_b32 v[32:33], v22 offset0:192 offset1:224
	s_wait_dscnt 0x3
	v_fmac_f32_e32 v25, v14, v34
	v_fmac_f32_e32 v25, v15, v35
	ds_load_b128 v[12:15], v18 offset:64
	ds_load_2addr_b32 v[34:35], v23 offset1:32
	s_wait_dscnt 0x3
	v_fmac_f32_e32 v25, v26, v30
	s_delay_alu instid0(VALU_DEP_1) | instskip(SKIP_3) | instid1(VALU_DEP_1)
	v_fmac_f32_e32 v25, v27, v31
	ds_load_2addr_b32 v[30:31], v23 offset0:64 offset1:96
	s_wait_dscnt 0x3
	v_fmac_f32_e32 v25, v28, v32
	v_fmac_f32_e32 v25, v29, v33
	ds_load_b128 v[26:29], v18 offset:80
	ds_load_2addr_b32 v[32:33], v23 offset0:128 offset1:160
	s_wait_dscnt 0x3
	v_fmac_f32_e32 v25, v12, v34
	s_delay_alu instid0(VALU_DEP_1) | instskip(SKIP_3) | instid1(VALU_DEP_1)
	v_fmac_f32_e32 v25, v13, v35
	ds_load_2addr_b32 v[34:35], v23 offset0:192 offset1:224
	s_wait_dscnt 0x3
	v_fmac_f32_e32 v25, v14, v30
	v_fmac_f32_e32 v25, v15, v31
	ds_load_2addr_b32 v[30:31], v24 offset1:32
	ds_load_b128 v[12:15], v18 offset:96
	s_wait_dscnt 0x3
	v_fmac_f32_e32 v25, v26, v32
	s_delay_alu instid0(VALU_DEP_1) | instskip(SKIP_4) | instid1(VALU_DEP_1)
	v_fmac_f32_e32 v25, v27, v33
	s_wait_dscnt 0x2
	v_pk_mul_f32 v[26:27], v[28:29], v[34:35]
	ds_load_2addr_b32 v[32:33], v24 offset0:64 offset1:96
	v_add_f32_e32 v25, v25, v26
	v_add_f32_e32 v25, v25, v27
	ds_load_b128 v[26:29], v18 offset:112
	s_wait_dscnt 0x2
	v_pk_mul_f32 v[12:13], v[12:13], v[30:31]
	ds_load_2addr_b32 v[30:31], v24 offset0:128 offset1:160
	v_add_f32_e32 v12, v25, v12
	s_delay_alu instid0(VALU_DEP_1) | instskip(SKIP_4) | instid1(VALU_DEP_1)
	v_add_f32_e32 v25, v12, v13
	s_wait_dscnt 0x2
	v_pk_mul_f32 v[12:13], v[14:15], v[32:33]
	ds_load_2addr_b32 v[14:15], v24 offset0:192 offset1:224
	v_add_f32_e32 v12, v25, v12
	v_add_f32_e32 v25, v12, v13
	s_wait_dscnt 0x1
	v_pk_mul_f32 v[12:13], v[26:27], v[30:31]
	s_delay_alu instid0(VALU_DEP_1) | instskip(NEXT) | instid1(VALU_DEP_1)
	v_add_f32_e32 v12, v25, v12
	v_add_f32_e32 v25, v12, v13
	s_wait_dscnt 0x0
	v_pk_mul_f32 v[12:13], v[28:29], v[14:15]
	s_delay_alu instid0(VALU_DEP_1) | instskip(NEXT) | instid1(VALU_DEP_1)
	v_add_f32_e32 v12, v25, v12
	v_add_f32_e32 v12, v12, v13
	s_wait_loadcnt 0x0
	s_delay_alu instid0(VALU_DEP_1)
	v_fmac_f32_e32 v9, s31, v12
	global_store_b32 v[10:11], v9, off
	s_branch .LBB5_9
.LBB5_16:
	s_endpgm
	.section	.rodata,"a",@progbits
	.p2align	6, 0x0
	.amdhsa_kernel _ZL24rocblas_symm_hemm_kernelILb0ELb1ELi32EfPKfPfEvbiiT2_T3_lllS4_lllT4_llli
		.amdhsa_group_segment_fixed_size 8192
		.amdhsa_private_segment_fixed_size 0
		.amdhsa_kernarg_size 376
		.amdhsa_user_sgpr_count 2
		.amdhsa_user_sgpr_dispatch_ptr 0
		.amdhsa_user_sgpr_queue_ptr 0
		.amdhsa_user_sgpr_kernarg_segment_ptr 1
		.amdhsa_user_sgpr_dispatch_id 0
		.amdhsa_user_sgpr_kernarg_preload_length 0
		.amdhsa_user_sgpr_kernarg_preload_offset 0
		.amdhsa_user_sgpr_private_segment_size 0
		.amdhsa_wavefront_size32 1
		.amdhsa_uses_dynamic_stack 0
		.amdhsa_enable_private_segment 0
		.amdhsa_system_sgpr_workgroup_id_x 1
		.amdhsa_system_sgpr_workgroup_id_y 1
		.amdhsa_system_sgpr_workgroup_id_z 1
		.amdhsa_system_sgpr_workgroup_info 0
		.amdhsa_system_vgpr_workitem_id 1
		.amdhsa_next_free_vgpr 36
		.amdhsa_next_free_sgpr 41
		.amdhsa_named_barrier_count 0
		.amdhsa_reserve_vcc 1
		.amdhsa_float_round_mode_32 0
		.amdhsa_float_round_mode_16_64 0
		.amdhsa_float_denorm_mode_32 3
		.amdhsa_float_denorm_mode_16_64 3
		.amdhsa_fp16_overflow 0
		.amdhsa_memory_ordered 1
		.amdhsa_forward_progress 1
		.amdhsa_inst_pref_size 11
		.amdhsa_round_robin_scheduling 0
		.amdhsa_exception_fp_ieee_invalid_op 0
		.amdhsa_exception_fp_denorm_src 0
		.amdhsa_exception_fp_ieee_div_zero 0
		.amdhsa_exception_fp_ieee_overflow 0
		.amdhsa_exception_fp_ieee_underflow 0
		.amdhsa_exception_fp_ieee_inexact 0
		.amdhsa_exception_int_div_zero 0
	.end_amdhsa_kernel
	.section	.text._ZL24rocblas_symm_hemm_kernelILb0ELb1ELi32EfPKfPfEvbiiT2_T3_lllS4_lllT4_llli,"axG",@progbits,_ZL24rocblas_symm_hemm_kernelILb0ELb1ELi32EfPKfPfEvbiiT2_T3_lllS4_lllT4_llli,comdat
.Lfunc_end5:
	.size	_ZL24rocblas_symm_hemm_kernelILb0ELb1ELi32EfPKfPfEvbiiT2_T3_lllS4_lllT4_llli, .Lfunc_end5-_ZL24rocblas_symm_hemm_kernelILb0ELb1ELi32EfPKfPfEvbiiT2_T3_lllS4_lllT4_llli
                                        ; -- End function
	.set _ZL24rocblas_symm_hemm_kernelILb0ELb1ELi32EfPKfPfEvbiiT2_T3_lllS4_lllT4_llli.num_vgpr, 36
	.set _ZL24rocblas_symm_hemm_kernelILb0ELb1ELi32EfPKfPfEvbiiT2_T3_lllS4_lllT4_llli.num_agpr, 0
	.set _ZL24rocblas_symm_hemm_kernelILb0ELb1ELi32EfPKfPfEvbiiT2_T3_lllS4_lllT4_llli.numbered_sgpr, 41
	.set _ZL24rocblas_symm_hemm_kernelILb0ELb1ELi32EfPKfPfEvbiiT2_T3_lllS4_lllT4_llli.num_named_barrier, 0
	.set _ZL24rocblas_symm_hemm_kernelILb0ELb1ELi32EfPKfPfEvbiiT2_T3_lllS4_lllT4_llli.private_seg_size, 0
	.set _ZL24rocblas_symm_hemm_kernelILb0ELb1ELi32EfPKfPfEvbiiT2_T3_lllS4_lllT4_llli.uses_vcc, 1
	.set _ZL24rocblas_symm_hemm_kernelILb0ELb1ELi32EfPKfPfEvbiiT2_T3_lllS4_lllT4_llli.uses_flat_scratch, 0
	.set _ZL24rocblas_symm_hemm_kernelILb0ELb1ELi32EfPKfPfEvbiiT2_T3_lllS4_lllT4_llli.has_dyn_sized_stack, 0
	.set _ZL24rocblas_symm_hemm_kernelILb0ELb1ELi32EfPKfPfEvbiiT2_T3_lllS4_lllT4_llli.has_recursion, 0
	.set _ZL24rocblas_symm_hemm_kernelILb0ELb1ELi32EfPKfPfEvbiiT2_T3_lllS4_lllT4_llli.has_indirect_call, 0
	.section	.AMDGPU.csdata,"",@progbits
; Kernel info:
; codeLenInByte = 1316
; TotalNumSgprs: 43
; NumVgprs: 36
; ScratchSize: 0
; MemoryBound: 0
; FloatMode: 240
; IeeeMode: 1
; LDSByteSize: 8192 bytes/workgroup (compile time only)
; SGPRBlocks: 0
; VGPRBlocks: 2
; NumSGPRsForWavesPerEU: 43
; NumVGPRsForWavesPerEU: 36
; NamedBarCnt: 0
; Occupancy: 16
; WaveLimiterHint : 0
; COMPUTE_PGM_RSRC2:SCRATCH_EN: 0
; COMPUTE_PGM_RSRC2:USER_SGPR: 2
; COMPUTE_PGM_RSRC2:TRAP_HANDLER: 0
; COMPUTE_PGM_RSRC2:TGID_X_EN: 1
; COMPUTE_PGM_RSRC2:TGID_Y_EN: 1
; COMPUTE_PGM_RSRC2:TGID_Z_EN: 1
; COMPUTE_PGM_RSRC2:TIDIG_COMP_CNT: 1
	.section	.text._ZL25rocblas_symm_scale_kernelILi128ELi8EPKdPdEviiT1_T2_llli,"axG",@progbits,_ZL25rocblas_symm_scale_kernelILi128ELi8EPKdPdEviiT1_T2_llli,comdat
	.globl	_ZL25rocblas_symm_scale_kernelILi128ELi8EPKdPdEviiT1_T2_llli ; -- Begin function _ZL25rocblas_symm_scale_kernelILi128ELi8EPKdPdEviiT1_T2_llli
	.p2align	8
	.type	_ZL25rocblas_symm_scale_kernelILi128ELi8EPKdPdEviiT1_T2_llli,@function
_ZL25rocblas_symm_scale_kernelILi128ELi8EPKdPdEviiT1_T2_llli: ; @_ZL25rocblas_symm_scale_kernelILi128ELi8EPKdPdEviiT1_T2_llli
; %bb.0:
	s_load_b256 s[4:11], s[0:1], 0x8
	s_wait_kmcnt 0x0
	s_load_b64 s[4:5], s[4:5], 0x0
	s_wait_kmcnt 0x0
	v_cmp_eq_f64_e64 s2, s[4:5], 1.0
	s_and_b32 vcc_lo, exec_lo, s2
	s_cbranch_vccnz .LBB6_10
; %bb.1:
	s_load_b32 s14, s[0:1], 0x30
	s_bfe_u32 s2, ttmp6, 0x40014
	s_lshr_b32 s3, ttmp7, 16
	s_add_co_i32 s2, s2, 1
	s_bfe_u32 s13, ttmp6, 0x40008
	s_mul_i32 s12, s3, s2
	s_getreg_b32 s2, hwreg(HW_REG_IB_STS2, 6, 4)
	s_add_co_i32 s13, s13, s12
	s_cmp_eq_u32 s2, 0
	s_cselect_b32 s15, s3, s13
	s_mov_b32 s3, 0
	s_wait_kmcnt 0x0
	s_cmp_ge_u32 s15, s14
	s_cbranch_scc1 .LBB6_10
; %bb.2:
	s_bfe_u32 s12, ttmp6, 0x40010
	s_bfe_u32 s16, ttmp6, 0x4000c
	s_and_b32 s13, ttmp7, 0xffff
	s_add_co_i32 s12, s12, 1
	s_add_co_i32 s16, s16, 1
	s_mul_i32 s12, s13, s12
	s_bfe_u32 s17, ttmp6, 0x40004
	s_and_b32 s18, ttmp6, 15
	s_mul_i32 s16, ttmp9, s16
	s_add_co_i32 s17, s17, s12
	s_add_co_i32 s18, s18, s16
	v_bfe_u32 v1, v0, 10, 10
	s_cmp_eq_u32 s2, 0
	v_mov_b32_e32 v3, 0
	s_cselect_b32 s2, s13, s17
	s_load_b64 s[16:17], s[0:1], 0x0
	v_lshl_add_u32 v2, s2, 3, v1
	s_cselect_b32 s2, ttmp9, s18
	s_load_b64 s[18:19], s[0:1], 0x28
	v_and_b32_e32 v0, 0x3ff, v0
	s_lshl_b64 s[8:9], s[8:9], 3
	v_mul_u64_e32 v[4:5], s[10:11], v[2:3]
	v_mov_b32_e32 v1, v3
	s_wait_xcnt 0x0
	s_add_nc_u64 s[0:1], s[0:1], 56
	v_lshl_add_u32 v0, s2, 7, v0
	s_wait_kmcnt 0x0
	s_ashr_i32 s13, s17, 31
	s_mov_b32 s12, s17
	v_cmp_neq_f64_e64 s17, s[4:5], 0
	v_cmp_gt_u32_e64 s2, s16, v0
	v_cmp_gt_i64_e32 vcc_lo, s[12:13], v[2:3]
	s_and_b32 s16, s2, vcc_lo
	v_lshl_add_u64 v[4:5], v[4:5], 3, s[8:9]
	s_lshl_b64 s[8:9], s[10:11], 3
	s_delay_alu instid0(VALU_DEP_1) | instskip(NEXT) | instid1(VALU_DEP_1)
	v_lshl_add_u64 v[0:1], v[0:1], 3, v[4:5]
	v_add_nc_u64_e32 v[0:1], s[6:7], v[0:1]
	s_lshl_b64 s[6:7], s[18:19], 3
	s_branch .LBB6_4
.LBB6_3:                                ;   in Loop: Header=BB6_4 Depth=1
	s_or_b32 exec_lo, exec_lo, s18
	s_add_co_i32 s15, s15, 0x10000
	s_delay_alu instid0(SALU_CYCLE_1)
	s_cmp_lt_u32 s15, s14
	s_cbranch_scc0 .LBB6_10
.LBB6_4:                                ; =>This Loop Header: Depth=1
                                        ;     Child Loop BB6_8 Depth 2
	s_and_saveexec_b32 s18, s16
	s_cbranch_execz .LBB6_3
; %bb.5:                                ;   in Loop: Header=BB6_4 Depth=1
	s_load_b32 s2, s[0:1], 0x4
	s_delay_alu instid0(VALU_DEP_1) | instskip(SKIP_2) | instid1(VALU_DEP_2)
	v_mad_nc_u64_u32 v[4:5], s6, s15, v[0:1]
	v_mov_b64_e32 v[6:7], v[2:3]
	s_mov_b32 s19, 0
	v_mad_u32 v5, s7, s15, v5
	s_wait_kmcnt 0x0
	s_lshl_b32 s2, s2, 3
	s_delay_alu instid0(SALU_CYCLE_1)
	s_mul_u64 s[10:11], s[8:9], s[2:3]
	s_branch .LBB6_8
.LBB6_6:                                ;   in Loop: Header=BB6_8 Depth=2
	global_load_b64 v[8:9], v[4:5], off
	s_wait_loadcnt 0x0
	v_mul_f64_e32 v[8:9], s[4:5], v[8:9]
.LBB6_7:                                ;   in Loop: Header=BB6_8 Depth=2
	v_add_nc_u64_e32 v[6:7], s[2:3], v[6:7]
	global_store_b64 v[4:5], v[8:9], off
	s_wait_xcnt 0x0
	v_add_nc_u64_e32 v[4:5], s[10:11], v[4:5]
	v_cmp_le_i64_e32 vcc_lo, s[12:13], v[6:7]
	s_or_b32 s19, vcc_lo, s19
	s_delay_alu instid0(SALU_CYCLE_1)
	s_and_not1_b32 exec_lo, exec_lo, s19
	s_cbranch_execz .LBB6_3
.LBB6_8:                                ;   Parent Loop BB6_4 Depth=1
                                        ; =>  This Inner Loop Header: Depth=2
	s_and_not1_b32 vcc_lo, exec_lo, s17
	s_cbranch_vccz .LBB6_6
; %bb.9:                                ;   in Loop: Header=BB6_8 Depth=2
	v_mov_b64_e32 v[8:9], 0
	s_branch .LBB6_7
.LBB6_10:
	s_endpgm
	.section	.rodata,"a",@progbits
	.p2align	6, 0x0
	.amdhsa_kernel _ZL25rocblas_symm_scale_kernelILi128ELi8EPKdPdEviiT1_T2_llli
		.amdhsa_group_segment_fixed_size 0
		.amdhsa_private_segment_fixed_size 0
		.amdhsa_kernarg_size 312
		.amdhsa_user_sgpr_count 2
		.amdhsa_user_sgpr_dispatch_ptr 0
		.amdhsa_user_sgpr_queue_ptr 0
		.amdhsa_user_sgpr_kernarg_segment_ptr 1
		.amdhsa_user_sgpr_dispatch_id 0
		.amdhsa_user_sgpr_kernarg_preload_length 0
		.amdhsa_user_sgpr_kernarg_preload_offset 0
		.amdhsa_user_sgpr_private_segment_size 0
		.amdhsa_wavefront_size32 1
		.amdhsa_uses_dynamic_stack 0
		.amdhsa_enable_private_segment 0
		.amdhsa_system_sgpr_workgroup_id_x 1
		.amdhsa_system_sgpr_workgroup_id_y 1
		.amdhsa_system_sgpr_workgroup_id_z 1
		.amdhsa_system_sgpr_workgroup_info 0
		.amdhsa_system_vgpr_workitem_id 1
		.amdhsa_next_free_vgpr 10
		.amdhsa_next_free_sgpr 20
		.amdhsa_named_barrier_count 0
		.amdhsa_reserve_vcc 1
		.amdhsa_float_round_mode_32 0
		.amdhsa_float_round_mode_16_64 0
		.amdhsa_float_denorm_mode_32 3
		.amdhsa_float_denorm_mode_16_64 3
		.amdhsa_fp16_overflow 0
		.amdhsa_memory_ordered 1
		.amdhsa_forward_progress 1
		.amdhsa_inst_pref_size 4
		.amdhsa_round_robin_scheduling 0
		.amdhsa_exception_fp_ieee_invalid_op 0
		.amdhsa_exception_fp_denorm_src 0
		.amdhsa_exception_fp_ieee_div_zero 0
		.amdhsa_exception_fp_ieee_overflow 0
		.amdhsa_exception_fp_ieee_underflow 0
		.amdhsa_exception_fp_ieee_inexact 0
		.amdhsa_exception_int_div_zero 0
	.end_amdhsa_kernel
	.section	.text._ZL25rocblas_symm_scale_kernelILi128ELi8EPKdPdEviiT1_T2_llli,"axG",@progbits,_ZL25rocblas_symm_scale_kernelILi128ELi8EPKdPdEviiT1_T2_llli,comdat
.Lfunc_end6:
	.size	_ZL25rocblas_symm_scale_kernelILi128ELi8EPKdPdEviiT1_T2_llli, .Lfunc_end6-_ZL25rocblas_symm_scale_kernelILi128ELi8EPKdPdEviiT1_T2_llli
                                        ; -- End function
	.set _ZL25rocblas_symm_scale_kernelILi128ELi8EPKdPdEviiT1_T2_llli.num_vgpr, 10
	.set _ZL25rocblas_symm_scale_kernelILi128ELi8EPKdPdEviiT1_T2_llli.num_agpr, 0
	.set _ZL25rocblas_symm_scale_kernelILi128ELi8EPKdPdEviiT1_T2_llli.numbered_sgpr, 20
	.set _ZL25rocblas_symm_scale_kernelILi128ELi8EPKdPdEviiT1_T2_llli.num_named_barrier, 0
	.set _ZL25rocblas_symm_scale_kernelILi128ELi8EPKdPdEviiT1_T2_llli.private_seg_size, 0
	.set _ZL25rocblas_symm_scale_kernelILi128ELi8EPKdPdEviiT1_T2_llli.uses_vcc, 1
	.set _ZL25rocblas_symm_scale_kernelILi128ELi8EPKdPdEviiT1_T2_llli.uses_flat_scratch, 0
	.set _ZL25rocblas_symm_scale_kernelILi128ELi8EPKdPdEviiT1_T2_llli.has_dyn_sized_stack, 0
	.set _ZL25rocblas_symm_scale_kernelILi128ELi8EPKdPdEviiT1_T2_llli.has_recursion, 0
	.set _ZL25rocblas_symm_scale_kernelILi128ELi8EPKdPdEviiT1_T2_llli.has_indirect_call, 0
	.section	.AMDGPU.csdata,"",@progbits
; Kernel info:
; codeLenInByte = 496
; TotalNumSgprs: 22
; NumVgprs: 10
; ScratchSize: 0
; MemoryBound: 1
; FloatMode: 240
; IeeeMode: 1
; LDSByteSize: 0 bytes/workgroup (compile time only)
; SGPRBlocks: 0
; VGPRBlocks: 0
; NumSGPRsForWavesPerEU: 22
; NumVGPRsForWavesPerEU: 10
; NamedBarCnt: 0
; Occupancy: 16
; WaveLimiterHint : 0
; COMPUTE_PGM_RSRC2:SCRATCH_EN: 0
; COMPUTE_PGM_RSRC2:USER_SGPR: 2
; COMPUTE_PGM_RSRC2:TRAP_HANDLER: 0
; COMPUTE_PGM_RSRC2:TGID_X_EN: 1
; COMPUTE_PGM_RSRC2:TGID_Y_EN: 1
; COMPUTE_PGM_RSRC2:TGID_Z_EN: 1
; COMPUTE_PGM_RSRC2:TIDIG_COMP_CNT: 1
	.section	.text._ZL24rocblas_symm_hemm_kernelILb0ELb0ELi32EPKdS1_PdEvbiiT2_T3_lllS4_lllT4_llli,"axG",@progbits,_ZL24rocblas_symm_hemm_kernelILb0ELb0ELi32EPKdS1_PdEvbiiT2_T3_lllS4_lllT4_llli,comdat
	.globl	_ZL24rocblas_symm_hemm_kernelILb0ELb0ELi32EPKdS1_PdEvbiiT2_T3_lllS4_lllT4_llli ; -- Begin function _ZL24rocblas_symm_hemm_kernelILb0ELb0ELi32EPKdS1_PdEvbiiT2_T3_lllS4_lllT4_llli
	.p2align	8
	.type	_ZL24rocblas_symm_hemm_kernelILb0ELb0ELi32EPKdS1_PdEvbiiT2_T3_lllS4_lllT4_llli,@function
_ZL24rocblas_symm_hemm_kernelILb0ELb0ELi32EPKdS1_PdEvbiiT2_T3_lllS4_lllT4_llli: ; @_ZL24rocblas_symm_hemm_kernelILb0ELb0ELi32EPKdS1_PdEvbiiT2_T3_lllS4_lllT4_llli
; %bb.0:
	s_load_b512 s[4:19], s[0:1], 0x10
	s_wait_kmcnt 0x0
	s_load_b64 s[4:5], s[4:5], 0x0
	s_wait_kmcnt 0x0
	v_cmp_eq_f64_e64 s2, s[4:5], 0
	s_and_b32 vcc_lo, exec_lo, s2
	s_cbranch_vccnz .LBB7_16
; %bb.1:
	s_load_b32 s31, s[0:1], 0x78
	s_bfe_u32 s2, ttmp6, 0x40014
	s_lshr_b32 s20, ttmp7, 16
	s_add_co_i32 s2, s2, 1
	s_bfe_u32 s21, ttmp6, 0x40008
	s_mul_i32 s2, s20, s2
	s_getreg_b32 s3, hwreg(HW_REG_IB_STS2, 6, 4)
	s_add_co_i32 s21, s21, s2
	s_cmp_eq_u32 s3, 0
	s_mov_b32 s35, 0
	s_cselect_b32 s34, s20, s21
	s_wait_kmcnt 0x0
	s_cmp_ge_u32 s34, s31
	s_cbranch_scc1 .LBB7_16
; %bb.2:
	s_clause 0x1
	s_load_b96 s[28:30], s[0:1], 0x0
	s_load_b256 s[20:27], s[0:1], 0x50
	s_lshl_b64 s[38:39], s[8:9], 3
	s_lshl_b64 s[16:17], s[16:17], 3
	v_bfe_u32 v18, v0, 10, 10
	v_and_b32_e32 v19, 0x3ff, v0
	s_load_b64 s[8:9], s[0:1], 0x70
	s_add_nc_u64 s[6:7], s[6:7], s[38:39]
	s_add_nc_u64 s[14:15], s[14:15], s[16:17]
	s_delay_alu instid0(VALU_DEP_1) | instskip(SKIP_1) | instid1(VALU_DEP_1)
	v_dual_lshlrev_b32 v0, 3, v18 :: v_dual_lshlrev_b32 v20, 8, v19
	s_add_nc_u64 s[16:17], s[0:1], 0x80
	v_or_b32_e32 v21, 0x2000, v0
	s_delay_alu instid0(VALU_DEP_2) | instskip(NEXT) | instid1(VALU_DEP_2)
	v_add_nc_u32_e32 v22, v20, v0
	v_add_nc_u32_e32 v23, v21, v20
	s_wait_kmcnt 0x0
	s_bitcmp1_b32 s28, 0
	v_add_nc_u32_e32 v24, 0x800, v21
	s_cselect_b32 s2, -1, 0
	s_add_co_i32 s28, s30, -1
	s_bfe_u32 s36, ttmp6, 0x4000c
	s_bfe_u32 s40, ttmp6, 0x40010
	s_ashr_i32 s42, s28, 31
	s_and_b32 s37, ttmp7, 0xffff
	s_add_co_i32 s36, s36, 1
	s_add_co_i32 s40, s40, 1
	s_lshr_b32 s42, s42, 27
	s_and_b32 s33, ttmp6, 15
	s_bfe_u32 s41, ttmp6, 0x40004
	s_mul_i32 s36, ttmp9, s36
	s_mul_i32 s40, s37, s40
	s_add_co_i32 s28, s28, s42
	s_lshl_b64 s[24:25], s[24:25], 3
	s_add_co_i32 s33, s33, s36
	s_add_co_i32 s41, s41, s40
	s_ashr_i32 s28, s28, 5
	s_cmp_eq_u32 s3, 0
	s_add_nc_u64 s[22:23], s[22:23], s[24:25]
	s_cselect_b32 s3, ttmp9, s33
	s_cselect_b32 s33, s37, s41
	v_lshl_add_u32 v0, s3, 5, v19
	s_cmp_le_i32 s33, s28
	v_add_nc_u32_e32 v25, 0x1800, v21
	s_cselect_b32 s36, -1, 0
	s_cmp_gt_i32 s29, 0
	v_ashrrev_i32_e32 v1, 31, v0
	v_cmp_gt_i32_e64 s3, s29, v0
	s_cselect_b32 s37, -1, 0
	v_lshl_add_u64 v[2:3], v[0:1], 3, s[22:23]
	v_add_nc_u32_e32 v1, 0x1000, v21
	s_branch .LBB7_4
.LBB7_3:                                ;   in Loop: Header=BB7_4 Depth=1
	s_add_co_i32 s34, s34, 0x10000
	s_delay_alu instid0(SALU_CYCLE_1)
	s_cmp_lt_u32 s34, s31
	s_cbranch_scc0 .LBB7_16
.LBB7_4:                                ; =>This Loop Header: Depth=1
                                        ;     Child Loop BB7_7 Depth 2
                                        ;       Child Loop BB7_10 Depth 3
	s_and_not1_b32 vcc_lo, exec_lo, s36
	s_cbranch_vccnz .LBB7_3
; %bb.5:                                ;   in Loop: Header=BB7_4 Depth=1
	s_load_b32 s1, s[16:17], 0x4
	s_mul_u64 s[38:39], s[8:9], s[34:35]
	s_mul_u64 s[22:23], s[12:13], s[34:35]
	;; [unrolled: 1-line block ×3, first 2 shown]
	v_lshl_add_u64 v[4:5], s[38:39], 3, v[2:3]
	s_lshl_b64 s[22:23], s[22:23], 3
	s_lshl_b64 s[24:25], s[24:25], 3
	s_add_nc_u64 s[22:23], s[6:7], s[22:23]
	s_add_nc_u64 s[24:25], s[14:15], s[24:25]
	s_mov_b32 s38, s33
	s_branch .LBB7_7
.LBB7_6:                                ;   in Loop: Header=BB7_7 Depth=2
	s_wait_kmcnt 0x0
	s_add_co_i32 s38, s38, s1
	s_delay_alu instid0(SALU_CYCLE_1)
	s_cmp_gt_i32 s38, s28
	s_cbranch_scc1 .LBB7_3
.LBB7_7:                                ;   Parent Loop BB7_4 Depth=1
                                        ; =>  This Loop Header: Depth=2
                                        ;       Child Loop BB7_10 Depth 3
	s_and_not1_b32 vcc_lo, exec_lo, s37
	s_cbranch_vccnz .LBB7_6
; %bb.8:                                ;   in Loop: Header=BB7_7 Depth=2
	v_lshl_add_u32 v6, s38, 5, v18
	s_mov_b32 s40, 0
	s_delay_alu instid0(VALU_DEP_1) | instskip(SKIP_1) | instid1(VALU_DEP_2)
	v_ashrrev_i32_e32 v7, 31, v6
	v_cmp_gt_i32_e32 vcc_lo, s30, v6
	v_mul_u64_e32 v[8:9], s[18:19], v[6:7]
	v_mul_u64_e32 v[10:11], s[26:27], v[6:7]
	s_and_b32 s39, s3, vcc_lo
	s_delay_alu instid0(VALU_DEP_2) | instskip(NEXT) | instid1(VALU_DEP_2)
	v_lshl_add_u64 v[6:7], v[8:9], 3, s[24:25]
	v_lshl_add_u64 v[8:9], v[10:11], 3, v[4:5]
	s_branch .LBB7_10
.LBB7_9:                                ;   in Loop: Header=BB7_10 Depth=3
	s_wait_xcnt 0x0
	s_or_b32 exec_lo, exec_lo, s0
	s_add_co_i32 s40, s40, 32
	s_wait_storecnt 0x0
	s_cmp_ge_i32 s40, s29
	s_barrier_signal -1
	s_barrier_wait -1
	s_cbranch_scc1 .LBB7_6
.LBB7_10:                               ;   Parent Loop BB7_4 Depth=1
                                        ;     Parent Loop BB7_7 Depth=2
                                        ; =>    This Inner Loop Header: Depth=3
	v_add_nc_u32_e32 v10, s40, v18
	v_mov_b64_e32 v[14:15], 0
	s_mov_b32 s41, exec_lo
	s_delay_alu instid0(VALU_DEP_2) | instskip(NEXT) | instid1(VALU_DEP_1)
	v_dual_cndmask_b32 v11, v10, v0, s2 :: v_dual_cndmask_b32 v12, v0, v10, s2
	v_cmp_gt_i32_e64 s0, v11, v12
	s_delay_alu instid0(VALU_DEP_1) | instskip(SKIP_1) | instid1(VALU_DEP_2)
	v_dual_cndmask_b32 v12, v0, v10, s0 :: v_dual_cndmask_b32 v16, v10, v0, s0
	v_mov_b64_e32 v[10:11], 0
	v_max_i32_e32 v13, v12, v16
	s_delay_alu instid0(VALU_DEP_1)
	v_cmpx_gt_i32_e64 s29, v13
	s_cbranch_execz .LBB7_12
; %bb.11:                               ;   in Loop: Header=BB7_10 Depth=3
	v_ashrrev_i32_e32 v17, 31, v16
	v_ashrrev_i32_e32 v13, 31, v12
	s_delay_alu instid0(VALU_DEP_2) | instskip(NEXT) | instid1(VALU_DEP_1)
	v_mul_u64_e32 v[14:15], s[10:11], v[16:17]
	v_lshl_add_u64 v[14:15], v[14:15], 3, s[22:23]
	s_delay_alu instid0(VALU_DEP_1)
	v_lshl_add_u64 v[12:13], v[12:13], 3, v[14:15]
	global_load_b64 v[14:15], v[12:13], off
.LBB7_12:                               ;   in Loop: Header=BB7_10 Depth=3
	s_wait_xcnt 0x0
	s_or_b32 exec_lo, exec_lo, s41
	v_add_nc_u32_e32 v12, s40, v19
	s_wait_loadcnt 0x0
	ds_store_b64 v22, v[14:15]
	v_cmp_gt_i32_e64 s0, s29, v12
	s_and_b32 s41, s0, vcc_lo
	s_delay_alu instid0(SALU_CYCLE_1)
	s_and_saveexec_b32 s0, s41
	s_cbranch_execz .LBB7_14
; %bb.13:                               ;   in Loop: Header=BB7_10 Depth=3
	v_ashrrev_i32_e32 v13, 31, v12
	s_delay_alu instid0(VALU_DEP_1)
	v_lshl_add_u64 v[10:11], v[12:13], 3, v[6:7]
	global_load_b64 v[10:11], v[10:11], off
.LBB7_14:                               ;   in Loop: Header=BB7_10 Depth=3
	s_wait_xcnt 0x0
	s_or_b32 exec_lo, exec_lo, s0
	s_wait_loadcnt 0x0
	ds_store_b64 v23, v[10:11]
	s_wait_dscnt 0x0
	s_barrier_signal -1
	s_barrier_wait -1
	s_and_saveexec_b32 s0, s39
	s_cbranch_execz .LBB7_9
; %bb.15:                               ;   in Loop: Header=BB7_10 Depth=3
	ds_load_2addr_b64 v[10:13], v21 offset1:32
	ds_load_b128 v[14:17], v20
	ds_load_b128 v[26:29], v20 offset:16
	s_wait_dscnt 0x1
	v_fma_f64 v[10:11], v[14:15], v[10:11], 0
	s_delay_alu instid0(VALU_DEP_1) | instskip(SKIP_3) | instid1(VALU_DEP_1)
	v_fmac_f64_e32 v[10:11], v[16:17], v[12:13]
	ds_load_2addr_b64 v[12:15], v21 offset0:64 offset1:96
	s_wait_dscnt 0x0
	v_fmac_f64_e32 v[10:11], v[26:27], v[12:13]
	v_fmac_f64_e32 v[10:11], v[28:29], v[14:15]
	ds_load_2addr_b64 v[12:15], v21 offset0:128 offset1:160
	ds_load_b128 v[26:29], v20 offset:32
	ds_load_b128 v[30:33], v20 offset:48
	s_wait_dscnt 0x1
	v_fmac_f64_e32 v[10:11], v[26:27], v[12:13]
	s_delay_alu instid0(VALU_DEP_1) | instskip(SKIP_3) | instid1(VALU_DEP_1)
	v_fmac_f64_e32 v[10:11], v[28:29], v[14:15]
	ds_load_2addr_b64 v[12:15], v21 offset0:192 offset1:224
	s_wait_dscnt 0x0
	v_fmac_f64_e32 v[10:11], v[30:31], v[12:13]
	v_fmac_f64_e32 v[10:11], v[32:33], v[14:15]
	ds_load_2addr_b64 v[12:15], v24 offset1:32
	ds_load_b128 v[26:29], v20 offset:64
	ds_load_b128 v[30:33], v20 offset:80
	s_wait_dscnt 0x1
	v_fmac_f64_e32 v[10:11], v[26:27], v[12:13]
	s_delay_alu instid0(VALU_DEP_1) | instskip(SKIP_3) | instid1(VALU_DEP_1)
	v_fmac_f64_e32 v[10:11], v[28:29], v[14:15]
	ds_load_2addr_b64 v[12:15], v24 offset0:64 offset1:96
	s_wait_dscnt 0x0
	v_fmac_f64_e32 v[10:11], v[30:31], v[12:13]
	v_fmac_f64_e32 v[10:11], v[32:33], v[14:15]
	ds_load_2addr_b64 v[12:15], v24 offset0:128 offset1:160
	ds_load_b128 v[26:29], v20 offset:96
	ds_load_b128 v[30:33], v20 offset:112
	s_wait_dscnt 0x1
	v_fmac_f64_e32 v[10:11], v[26:27], v[12:13]
	s_delay_alu instid0(VALU_DEP_1) | instskip(SKIP_3) | instid1(VALU_DEP_1)
	v_fmac_f64_e32 v[10:11], v[28:29], v[14:15]
	ds_load_2addr_b64 v[12:15], v24 offset0:192 offset1:224
	s_wait_dscnt 0x0
	v_fmac_f64_e32 v[10:11], v[30:31], v[12:13]
	v_fmac_f64_e32 v[10:11], v[32:33], v[14:15]
	ds_load_2addr_b64 v[12:15], v1 offset1:32
	ds_load_b128 v[26:29], v20 offset:128
	ds_load_b128 v[30:33], v20 offset:144
	s_wait_dscnt 0x1
	v_fmac_f64_e32 v[10:11], v[26:27], v[12:13]
	s_delay_alu instid0(VALU_DEP_1) | instskip(SKIP_3) | instid1(VALU_DEP_1)
	v_fmac_f64_e32 v[10:11], v[28:29], v[14:15]
	ds_load_2addr_b64 v[12:15], v1 offset0:64 offset1:96
	s_wait_dscnt 0x0
	v_fmac_f64_e32 v[10:11], v[30:31], v[12:13]
	v_fmac_f64_e32 v[10:11], v[32:33], v[14:15]
	ds_load_2addr_b64 v[12:15], v1 offset0:128 offset1:160
	ds_load_b128 v[26:29], v20 offset:160
	ds_load_b128 v[30:33], v20 offset:176
	global_load_b64 v[16:17], v[8:9], off
	s_wait_dscnt 0x1
	v_fmac_f64_e32 v[10:11], v[26:27], v[12:13]
	s_delay_alu instid0(VALU_DEP_1) | instskip(SKIP_3) | instid1(VALU_DEP_1)
	v_fmac_f64_e32 v[10:11], v[28:29], v[14:15]
	ds_load_2addr_b64 v[12:15], v1 offset0:192 offset1:224
	s_wait_dscnt 0x0
	v_fmac_f64_e32 v[10:11], v[30:31], v[12:13]
	v_fmac_f64_e32 v[10:11], v[32:33], v[14:15]
	ds_load_2addr_b64 v[12:15], v25 offset1:32
	ds_load_b128 v[26:29], v20 offset:192
	ds_load_b128 v[30:33], v20 offset:208
	s_wait_dscnt 0x1
	v_fmac_f64_e32 v[10:11], v[26:27], v[12:13]
	s_delay_alu instid0(VALU_DEP_1) | instskip(SKIP_3) | instid1(VALU_DEP_1)
	v_fmac_f64_e32 v[10:11], v[28:29], v[14:15]
	ds_load_2addr_b64 v[12:15], v25 offset0:64 offset1:96
	s_wait_dscnt 0x0
	v_fmac_f64_e32 v[10:11], v[30:31], v[12:13]
	v_fmac_f64_e32 v[10:11], v[32:33], v[14:15]
	ds_load_2addr_b64 v[12:15], v25 offset0:128 offset1:160
	ds_load_b128 v[26:29], v20 offset:224
	ds_load_b128 v[30:33], v20 offset:240
	s_wait_dscnt 0x1
	v_fmac_f64_e32 v[10:11], v[26:27], v[12:13]
	s_delay_alu instid0(VALU_DEP_1) | instskip(SKIP_3) | instid1(VALU_DEP_1)
	v_fmac_f64_e32 v[10:11], v[28:29], v[14:15]
	ds_load_2addr_b64 v[12:15], v25 offset0:192 offset1:224
	s_wait_dscnt 0x0
	v_fmac_f64_e32 v[10:11], v[30:31], v[12:13]
	v_fmac_f64_e32 v[10:11], v[32:33], v[14:15]
	s_wait_loadcnt 0x0
	s_delay_alu instid0(VALU_DEP_1)
	v_fmac_f64_e32 v[16:17], s[4:5], v[10:11]
	global_store_b64 v[8:9], v[16:17], off
	s_branch .LBB7_9
.LBB7_16:
	s_endpgm
	.section	.rodata,"a",@progbits
	.p2align	6, 0x0
	.amdhsa_kernel _ZL24rocblas_symm_hemm_kernelILb0ELb0ELi32EPKdS1_PdEvbiiT2_T3_lllS4_lllT4_llli
		.amdhsa_group_segment_fixed_size 16384
		.amdhsa_private_segment_fixed_size 0
		.amdhsa_kernarg_size 384
		.amdhsa_user_sgpr_count 2
		.amdhsa_user_sgpr_dispatch_ptr 0
		.amdhsa_user_sgpr_queue_ptr 0
		.amdhsa_user_sgpr_kernarg_segment_ptr 1
		.amdhsa_user_sgpr_dispatch_id 0
		.amdhsa_user_sgpr_kernarg_preload_length 0
		.amdhsa_user_sgpr_kernarg_preload_offset 0
		.amdhsa_user_sgpr_private_segment_size 0
		.amdhsa_wavefront_size32 1
		.amdhsa_uses_dynamic_stack 0
		.amdhsa_enable_private_segment 0
		.amdhsa_system_sgpr_workgroup_id_x 1
		.amdhsa_system_sgpr_workgroup_id_y 1
		.amdhsa_system_sgpr_workgroup_id_z 1
		.amdhsa_system_sgpr_workgroup_info 0
		.amdhsa_system_vgpr_workitem_id 1
		.amdhsa_next_free_vgpr 34
		.amdhsa_next_free_sgpr 43
		.amdhsa_named_barrier_count 0
		.amdhsa_reserve_vcc 1
		.amdhsa_float_round_mode_32 0
		.amdhsa_float_round_mode_16_64 0
		.amdhsa_float_denorm_mode_32 3
		.amdhsa_float_denorm_mode_16_64 3
		.amdhsa_fp16_overflow 0
		.amdhsa_memory_ordered 1
		.amdhsa_forward_progress 1
		.amdhsa_inst_pref_size 11
		.amdhsa_round_robin_scheduling 0
		.amdhsa_exception_fp_ieee_invalid_op 0
		.amdhsa_exception_fp_denorm_src 0
		.amdhsa_exception_fp_ieee_div_zero 0
		.amdhsa_exception_fp_ieee_overflow 0
		.amdhsa_exception_fp_ieee_underflow 0
		.amdhsa_exception_fp_ieee_inexact 0
		.amdhsa_exception_int_div_zero 0
	.end_amdhsa_kernel
	.section	.text._ZL24rocblas_symm_hemm_kernelILb0ELb0ELi32EPKdS1_PdEvbiiT2_T3_lllS4_lllT4_llli,"axG",@progbits,_ZL24rocblas_symm_hemm_kernelILb0ELb0ELi32EPKdS1_PdEvbiiT2_T3_lllS4_lllT4_llli,comdat
.Lfunc_end7:
	.size	_ZL24rocblas_symm_hemm_kernelILb0ELb0ELi32EPKdS1_PdEvbiiT2_T3_lllS4_lllT4_llli, .Lfunc_end7-_ZL24rocblas_symm_hemm_kernelILb0ELb0ELi32EPKdS1_PdEvbiiT2_T3_lllS4_lllT4_llli
                                        ; -- End function
	.set _ZL24rocblas_symm_hemm_kernelILb0ELb0ELi32EPKdS1_PdEvbiiT2_T3_lllS4_lllT4_llli.num_vgpr, 34
	.set _ZL24rocblas_symm_hemm_kernelILb0ELb0ELi32EPKdS1_PdEvbiiT2_T3_lllS4_lllT4_llli.num_agpr, 0
	.set _ZL24rocblas_symm_hemm_kernelILb0ELb0ELi32EPKdS1_PdEvbiiT2_T3_lllS4_lllT4_llli.numbered_sgpr, 43
	.set _ZL24rocblas_symm_hemm_kernelILb0ELb0ELi32EPKdS1_PdEvbiiT2_T3_lllS4_lllT4_llli.num_named_barrier, 0
	.set _ZL24rocblas_symm_hemm_kernelILb0ELb0ELi32EPKdS1_PdEvbiiT2_T3_lllS4_lllT4_llli.private_seg_size, 0
	.set _ZL24rocblas_symm_hemm_kernelILb0ELb0ELi32EPKdS1_PdEvbiiT2_T3_lllS4_lllT4_llli.uses_vcc, 1
	.set _ZL24rocblas_symm_hemm_kernelILb0ELb0ELi32EPKdS1_PdEvbiiT2_T3_lllS4_lllT4_llli.uses_flat_scratch, 0
	.set _ZL24rocblas_symm_hemm_kernelILb0ELb0ELi32EPKdS1_PdEvbiiT2_T3_lllS4_lllT4_llli.has_dyn_sized_stack, 0
	.set _ZL24rocblas_symm_hemm_kernelILb0ELb0ELi32EPKdS1_PdEvbiiT2_T3_lllS4_lllT4_llli.has_recursion, 0
	.set _ZL24rocblas_symm_hemm_kernelILb0ELb0ELi32EPKdS1_PdEvbiiT2_T3_lllS4_lllT4_llli.has_indirect_call, 0
	.section	.AMDGPU.csdata,"",@progbits
; Kernel info:
; codeLenInByte = 1364
; TotalNumSgprs: 45
; NumVgprs: 34
; ScratchSize: 0
; MemoryBound: 0
; FloatMode: 240
; IeeeMode: 1
; LDSByteSize: 16384 bytes/workgroup (compile time only)
; SGPRBlocks: 0
; VGPRBlocks: 2
; NumSGPRsForWavesPerEU: 45
; NumVGPRsForWavesPerEU: 34
; NamedBarCnt: 0
; Occupancy: 16
; WaveLimiterHint : 1
; COMPUTE_PGM_RSRC2:SCRATCH_EN: 0
; COMPUTE_PGM_RSRC2:USER_SGPR: 2
; COMPUTE_PGM_RSRC2:TRAP_HANDLER: 0
; COMPUTE_PGM_RSRC2:TGID_X_EN: 1
; COMPUTE_PGM_RSRC2:TGID_Y_EN: 1
; COMPUTE_PGM_RSRC2:TGID_Z_EN: 1
; COMPUTE_PGM_RSRC2:TIDIG_COMP_CNT: 1
	.section	.text._ZL24rocblas_symm_hemm_kernelILb0ELb1ELi32EPKdS1_PdEvbiiT2_T3_lllS4_lllT4_llli,"axG",@progbits,_ZL24rocblas_symm_hemm_kernelILb0ELb1ELi32EPKdS1_PdEvbiiT2_T3_lllS4_lllT4_llli,comdat
	.globl	_ZL24rocblas_symm_hemm_kernelILb0ELb1ELi32EPKdS1_PdEvbiiT2_T3_lllS4_lllT4_llli ; -- Begin function _ZL24rocblas_symm_hemm_kernelILb0ELb1ELi32EPKdS1_PdEvbiiT2_T3_lllS4_lllT4_llli
	.p2align	8
	.type	_ZL24rocblas_symm_hemm_kernelILb0ELb1ELi32EPKdS1_PdEvbiiT2_T3_lllS4_lllT4_llli,@function
_ZL24rocblas_symm_hemm_kernelILb0ELb1ELi32EPKdS1_PdEvbiiT2_T3_lllS4_lllT4_llli: ; @_ZL24rocblas_symm_hemm_kernelILb0ELb1ELi32EPKdS1_PdEvbiiT2_T3_lllS4_lllT4_llli
; %bb.0:
	s_load_b512 s[4:19], s[0:1], 0x10
	s_wait_kmcnt 0x0
	s_load_b64 s[4:5], s[4:5], 0x0
	s_wait_kmcnt 0x0
	v_cmp_eq_f64_e64 s2, s[4:5], 0
	s_and_b32 vcc_lo, exec_lo, s2
	s_cbranch_vccnz .LBB8_16
; %bb.1:
	s_load_b32 s31, s[0:1], 0x78
	s_bfe_u32 s2, ttmp6, 0x40014
	s_lshr_b32 s20, ttmp7, 16
	s_add_co_i32 s2, s2, 1
	s_bfe_u32 s21, ttmp6, 0x40008
	s_mul_i32 s2, s20, s2
	s_getreg_b32 s3, hwreg(HW_REG_IB_STS2, 6, 4)
	s_add_co_i32 s21, s21, s2
	s_cmp_eq_u32 s3, 0
	s_mov_b32 s35, 0
	s_cselect_b32 s34, s20, s21
	s_wait_kmcnt 0x0
	s_cmp_ge_u32 s34, s31
	s_cbranch_scc1 .LBB8_16
; %bb.2:
	s_clause 0x1
	s_load_b96 s[28:30], s[0:1], 0x0
	s_load_b256 s[20:27], s[0:1], 0x50
	s_lshl_b64 s[36:37], s[8:9], 3
	v_bfe_u32 v20, v0, 10, 10
	v_and_b32_e32 v21, 0x3ff, v0
	s_add_nc_u64 s[6:7], s[6:7], s[36:37]
	s_delay_alu instid0(VALU_DEP_1) | instskip(NEXT) | instid1(VALU_DEP_1)
	v_dual_lshlrev_b32 v1, 3, v20 :: v_dual_lshlrev_b32 v22, 8, v21
	v_or_b32_e32 v23, 0x2000, v1
	s_delay_alu instid0(VALU_DEP_1)
	v_dual_add_nc_u32 v24, v22, v1 :: v_dual_add_nc_u32 v25, v23, v22
	v_add_nc_u32_e32 v26, 0x800, v23
	s_wait_kmcnt 0x0
	s_bitcmp1_b32 s28, 0
	v_add_nc_u32_e32 v27, 0x1000, v23
	s_cselect_b32 s2, -1, 0
	s_add_co_i32 s8, s30, -1
	s_lshl_b64 s[38:39], s[16:17], 3
	s_bfe_u32 s16, ttmp6, 0x4000c
	s_bfe_u32 s28, ttmp6, 0x40010
	s_ashr_i32 s40, s8, 31
	s_and_b32 s17, ttmp7, 0xffff
	s_add_co_i32 s16, s16, 1
	s_add_co_i32 s28, s28, 1
	s_lshr_b32 s40, s40, 27
	s_and_b32 s9, ttmp6, 15
	s_bfe_u32 s33, ttmp6, 0x40004
	s_mul_i32 s16, ttmp9, s16
	s_mul_i32 s28, s17, s28
	s_add_co_i32 s8, s8, s40
	s_lshl_b64 s[24:25], s[24:25], 3
	s_add_co_i32 s9, s9, s16
	s_add_co_i32 s33, s33, s28
	s_ashr_i32 s16, s8, 5
	s_cmp_eq_u32 s3, 0
	s_add_nc_u64 s[14:15], s[14:15], s[38:39]
	s_cselect_b32 s3, ttmp9, s9
	s_load_b64 s[8:9], s[0:1], 0x70
	v_lshl_add_u32 v0, s3, 5, v21
	s_add_nc_u64 s[24:25], s[22:23], s[24:25]
	s_cselect_b32 s17, s17, s33
	v_add_nc_u32_e32 v28, 0x1800, v23
	s_cmp_le_i32 s17, s16
	v_ashrrev_i32_e32 v1, 31, v0
	v_cmp_gt_i32_e64 s3, s29, v0
	s_cselect_b32 s22, -1, 0
	s_cmp_gt_i32 s30, 0
	s_wait_xcnt 0x0
	s_add_nc_u64 s[0:1], s[0:1], 0x80
	v_lshlrev_b64_e32 v[2:3], 3, v[0:1]
	s_cselect_b32 s23, -1, 0
	s_delay_alu instid0(VALU_DEP_1)
	v_add_nc_u64_e32 v[0:1], s[14:15], v[2:3]
	v_add_nc_u64_e32 v[2:3], s[24:25], v[2:3]
	s_branch .LBB8_4
.LBB8_3:                                ;   in Loop: Header=BB8_4 Depth=1
	s_add_co_i32 s34, s34, 0x10000
	s_delay_alu instid0(SALU_CYCLE_1)
	s_cmp_lt_u32 s34, s31
	s_cbranch_scc0 .LBB8_16
.LBB8_4:                                ; =>This Loop Header: Depth=1
                                        ;     Child Loop BB8_7 Depth 2
                                        ;       Child Loop BB8_10 Depth 3
	s_and_not1_b32 vcc_lo, exec_lo, s22
	s_cbranch_vccnz .LBB8_3
; %bb.5:                                ;   in Loop: Header=BB8_4 Depth=1
	s_load_b32 s24, s[0:1], 0x4
	s_mul_u64 s[28:29], s[20:21], s[34:35]
	s_wait_kmcnt 0x0
	s_mul_u64 s[36:37], s[8:9], s[34:35]
	s_mul_u64 s[14:15], s[12:13], s[34:35]
	v_lshl_add_u64 v[4:5], s[28:29], 3, v[0:1]
	v_lshl_add_u64 v[6:7], s[36:37], 3, v[2:3]
	s_lshl_b64 s[14:15], s[14:15], 3
	s_mov_b32 s25, s17
	s_add_nc_u64 s[14:15], s[6:7], s[14:15]
	s_branch .LBB8_7
.LBB8_6:                                ;   in Loop: Header=BB8_7 Depth=2
	s_add_co_i32 s25, s25, s24
	s_delay_alu instid0(SALU_CYCLE_1)
	s_cmp_gt_i32 s25, s16
	s_cbranch_scc1 .LBB8_3
.LBB8_7:                                ;   Parent Loop BB8_4 Depth=1
                                        ; =>  This Loop Header: Depth=2
                                        ;       Child Loop BB8_10 Depth 3
	s_and_not1_b32 vcc_lo, exec_lo, s23
	s_cbranch_vccnz .LBB8_6
; %bb.8:                                ;   in Loop: Header=BB8_7 Depth=2
	v_lshl_add_u32 v8, s25, 5, v20
	s_mov_b32 s29, 0
	s_delay_alu instid0(VALU_DEP_1) | instskip(SKIP_1) | instid1(VALU_DEP_2)
	v_ashrrev_i32_e32 v9, 31, v8
	v_cmp_gt_i32_e32 vcc_lo, s30, v8
	v_mul_u64_e32 v[10:11], s[26:27], v[8:9]
	s_and_b32 s28, s3, vcc_lo
	s_delay_alu instid0(VALU_DEP_1)
	v_lshl_add_u64 v[10:11], v[10:11], 3, v[6:7]
	s_branch .LBB8_10
.LBB8_9:                                ;   in Loop: Header=BB8_10 Depth=3
	s_wait_xcnt 0x0
	s_or_b32 exec_lo, exec_lo, s33
	s_add_co_i32 s29, s29, 32
	s_wait_storecnt 0x0
	s_cmp_ge_i32 s29, s30
	s_barrier_signal -1
	s_barrier_wait -1
	s_cbranch_scc1 .LBB8_6
.LBB8_10:                               ;   Parent Loop BB8_4 Depth=1
                                        ;     Parent Loop BB8_7 Depth=2
                                        ; =>    This Inner Loop Header: Depth=3
	v_add_nc_u32_e32 v16, s29, v20
	v_mov_b64_e32 v[12:13], 0
	v_mov_b64_e32 v[14:15], 0
	s_delay_alu instid0(VALU_DEP_3) | instskip(SKIP_1) | instid1(SALU_CYCLE_1)
	v_cmp_gt_i32_e32 vcc_lo, s30, v16
	s_and_b32 s36, s3, vcc_lo
	s_and_saveexec_b32 s33, s36
	s_cbranch_execz .LBB8_12
; %bb.11:                               ;   in Loop: Header=BB8_10 Depth=3
	v_ashrrev_i32_e32 v17, 31, v16
	s_delay_alu instid0(VALU_DEP_1) | instskip(NEXT) | instid1(VALU_DEP_1)
	v_mul_u64_e32 v[14:15], s[18:19], v[16:17]
	v_lshl_add_u64 v[14:15], v[14:15], 3, v[4:5]
	global_load_b64 v[14:15], v[14:15], off
.LBB8_12:                               ;   in Loop: Header=BB8_10 Depth=3
	s_wait_xcnt 0x0
	s_or_b32 exec_lo, exec_lo, s33
	v_add_nc_u32_e32 v9, s29, v21
	s_mov_b32 s33, exec_lo
	s_wait_loadcnt 0x0
	ds_store_b64 v24, v[14:15]
	v_dual_cndmask_b32 v16, v8, v9, s2 :: v_dual_cndmask_b32 v17, v9, v8, s2
	s_delay_alu instid0(VALU_DEP_1) | instskip(SKIP_1) | instid1(VALU_DEP_1)
	v_cmp_gt_i32_e32 vcc_lo, v16, v17
	v_dual_cndmask_b32 v16, v9, v8, vcc_lo :: v_dual_cndmask_b32 v18, v8, v9, vcc_lo
	v_max_i32_e32 v9, v16, v18
	s_delay_alu instid0(VALU_DEP_1)
	v_cmpx_gt_i32_e64 s30, v9
	s_cbranch_execz .LBB8_14
; %bb.13:                               ;   in Loop: Header=BB8_10 Depth=3
	v_dual_ashrrev_i32 v19, 31, v18 :: v_dual_ashrrev_i32 v17, 31, v16
	s_delay_alu instid0(VALU_DEP_1) | instskip(NEXT) | instid1(VALU_DEP_1)
	v_mul_u64_e32 v[12:13], s[10:11], v[18:19]
	v_lshl_add_u64 v[12:13], v[12:13], 3, s[14:15]
	s_delay_alu instid0(VALU_DEP_1)
	v_lshl_add_u64 v[12:13], v[16:17], 3, v[12:13]
	global_load_b64 v[12:13], v[12:13], off
.LBB8_14:                               ;   in Loop: Header=BB8_10 Depth=3
	s_wait_xcnt 0x0
	s_or_b32 exec_lo, exec_lo, s33
	s_wait_loadcnt 0x0
	ds_store_b64 v25, v[12:13]
	s_wait_dscnt 0x0
	s_barrier_signal -1
	s_barrier_wait -1
	s_and_saveexec_b32 s33, s28
	s_cbranch_execz .LBB8_9
; %bb.15:                               ;   in Loop: Header=BB8_10 Depth=3
	ds_load_2addr_b64 v[12:15], v23 offset1:32
	ds_load_b128 v[16:19], v22
	ds_load_b128 v[30:33], v22 offset:16
	s_wait_dscnt 0x1
	v_fma_f64 v[12:13], v[16:17], v[12:13], 0
	s_delay_alu instid0(VALU_DEP_1) | instskip(SKIP_3) | instid1(VALU_DEP_1)
	v_fmac_f64_e32 v[12:13], v[18:19], v[14:15]
	ds_load_2addr_b64 v[14:17], v23 offset0:64 offset1:96
	s_wait_dscnt 0x0
	v_fmac_f64_e32 v[12:13], v[30:31], v[14:15]
	v_fmac_f64_e32 v[12:13], v[32:33], v[16:17]
	ds_load_2addr_b64 v[14:17], v23 offset0:128 offset1:160
	ds_load_b128 v[30:33], v22 offset:32
	ds_load_b128 v[34:37], v22 offset:48
	s_wait_dscnt 0x1
	v_fmac_f64_e32 v[12:13], v[30:31], v[14:15]
	s_delay_alu instid0(VALU_DEP_1) | instskip(SKIP_3) | instid1(VALU_DEP_1)
	v_fmac_f64_e32 v[12:13], v[32:33], v[16:17]
	ds_load_2addr_b64 v[14:17], v23 offset0:192 offset1:224
	s_wait_dscnt 0x0
	v_fmac_f64_e32 v[12:13], v[34:35], v[14:15]
	v_fmac_f64_e32 v[12:13], v[36:37], v[16:17]
	ds_load_2addr_b64 v[14:17], v26 offset1:32
	ds_load_b128 v[30:33], v22 offset:64
	ds_load_b128 v[34:37], v22 offset:80
	s_wait_dscnt 0x1
	v_fmac_f64_e32 v[12:13], v[30:31], v[14:15]
	s_delay_alu instid0(VALU_DEP_1) | instskip(SKIP_3) | instid1(VALU_DEP_1)
	v_fmac_f64_e32 v[12:13], v[32:33], v[16:17]
	ds_load_2addr_b64 v[14:17], v26 offset0:64 offset1:96
	s_wait_dscnt 0x0
	v_fmac_f64_e32 v[12:13], v[34:35], v[14:15]
	v_fmac_f64_e32 v[12:13], v[36:37], v[16:17]
	ds_load_2addr_b64 v[14:17], v26 offset0:128 offset1:160
	ds_load_b128 v[30:33], v22 offset:96
	ds_load_b128 v[34:37], v22 offset:112
	s_wait_dscnt 0x1
	v_fmac_f64_e32 v[12:13], v[30:31], v[14:15]
	s_delay_alu instid0(VALU_DEP_1) | instskip(SKIP_3) | instid1(VALU_DEP_1)
	v_fmac_f64_e32 v[12:13], v[32:33], v[16:17]
	ds_load_2addr_b64 v[14:17], v26 offset0:192 offset1:224
	s_wait_dscnt 0x0
	v_fmac_f64_e32 v[12:13], v[34:35], v[14:15]
	v_fmac_f64_e32 v[12:13], v[36:37], v[16:17]
	ds_load_2addr_b64 v[14:17], v27 offset1:32
	ds_load_b128 v[30:33], v22 offset:128
	ds_load_b128 v[34:37], v22 offset:144
	s_wait_dscnt 0x1
	v_fmac_f64_e32 v[12:13], v[30:31], v[14:15]
	s_delay_alu instid0(VALU_DEP_1) | instskip(SKIP_3) | instid1(VALU_DEP_1)
	v_fmac_f64_e32 v[12:13], v[32:33], v[16:17]
	ds_load_2addr_b64 v[14:17], v27 offset0:64 offset1:96
	s_wait_dscnt 0x0
	v_fmac_f64_e32 v[12:13], v[34:35], v[14:15]
	v_fmac_f64_e32 v[12:13], v[36:37], v[16:17]
	ds_load_2addr_b64 v[14:17], v27 offset0:128 offset1:160
	ds_load_b128 v[30:33], v22 offset:160
	ds_load_b128 v[34:37], v22 offset:176
	global_load_b64 v[18:19], v[10:11], off
	s_wait_dscnt 0x1
	v_fmac_f64_e32 v[12:13], v[30:31], v[14:15]
	s_delay_alu instid0(VALU_DEP_1) | instskip(SKIP_3) | instid1(VALU_DEP_1)
	v_fmac_f64_e32 v[12:13], v[32:33], v[16:17]
	ds_load_2addr_b64 v[14:17], v27 offset0:192 offset1:224
	s_wait_dscnt 0x0
	v_fmac_f64_e32 v[12:13], v[34:35], v[14:15]
	v_fmac_f64_e32 v[12:13], v[36:37], v[16:17]
	ds_load_2addr_b64 v[14:17], v28 offset1:32
	ds_load_b128 v[30:33], v22 offset:192
	ds_load_b128 v[34:37], v22 offset:208
	s_wait_dscnt 0x1
	v_fmac_f64_e32 v[12:13], v[30:31], v[14:15]
	s_delay_alu instid0(VALU_DEP_1) | instskip(SKIP_3) | instid1(VALU_DEP_1)
	v_fmac_f64_e32 v[12:13], v[32:33], v[16:17]
	ds_load_2addr_b64 v[14:17], v28 offset0:64 offset1:96
	s_wait_dscnt 0x0
	v_fmac_f64_e32 v[12:13], v[34:35], v[14:15]
	v_fmac_f64_e32 v[12:13], v[36:37], v[16:17]
	ds_load_2addr_b64 v[14:17], v28 offset0:128 offset1:160
	ds_load_b128 v[30:33], v22 offset:224
	ds_load_b128 v[34:37], v22 offset:240
	s_wait_dscnt 0x1
	v_fmac_f64_e32 v[12:13], v[30:31], v[14:15]
	s_delay_alu instid0(VALU_DEP_1) | instskip(SKIP_3) | instid1(VALU_DEP_1)
	v_fmac_f64_e32 v[12:13], v[32:33], v[16:17]
	ds_load_2addr_b64 v[14:17], v28 offset0:192 offset1:224
	s_wait_dscnt 0x0
	v_fmac_f64_e32 v[12:13], v[34:35], v[14:15]
	v_fmac_f64_e32 v[12:13], v[36:37], v[16:17]
	s_wait_loadcnt 0x0
	s_delay_alu instid0(VALU_DEP_1)
	v_fmac_f64_e32 v[18:19], s[4:5], v[12:13]
	global_store_b64 v[10:11], v[18:19], off
	s_branch .LBB8_9
.LBB8_16:
	s_endpgm
	.section	.rodata,"a",@progbits
	.p2align	6, 0x0
	.amdhsa_kernel _ZL24rocblas_symm_hemm_kernelILb0ELb1ELi32EPKdS1_PdEvbiiT2_T3_lllS4_lllT4_llli
		.amdhsa_group_segment_fixed_size 16384
		.amdhsa_private_segment_fixed_size 0
		.amdhsa_kernarg_size 384
		.amdhsa_user_sgpr_count 2
		.amdhsa_user_sgpr_dispatch_ptr 0
		.amdhsa_user_sgpr_queue_ptr 0
		.amdhsa_user_sgpr_kernarg_segment_ptr 1
		.amdhsa_user_sgpr_dispatch_id 0
		.amdhsa_user_sgpr_kernarg_preload_length 0
		.amdhsa_user_sgpr_kernarg_preload_offset 0
		.amdhsa_user_sgpr_private_segment_size 0
		.amdhsa_wavefront_size32 1
		.amdhsa_uses_dynamic_stack 0
		.amdhsa_enable_private_segment 0
		.amdhsa_system_sgpr_workgroup_id_x 1
		.amdhsa_system_sgpr_workgroup_id_y 1
		.amdhsa_system_sgpr_workgroup_id_z 1
		.amdhsa_system_sgpr_workgroup_info 0
		.amdhsa_system_vgpr_workitem_id 1
		.amdhsa_next_free_vgpr 38
		.amdhsa_next_free_sgpr 41
		.amdhsa_named_barrier_count 0
		.amdhsa_reserve_vcc 1
		.amdhsa_float_round_mode_32 0
		.amdhsa_float_round_mode_16_64 0
		.amdhsa_float_denorm_mode_32 3
		.amdhsa_float_denorm_mode_16_64 3
		.amdhsa_fp16_overflow 0
		.amdhsa_memory_ordered 1
		.amdhsa_forward_progress 1
		.amdhsa_inst_pref_size 11
		.amdhsa_round_robin_scheduling 0
		.amdhsa_exception_fp_ieee_invalid_op 0
		.amdhsa_exception_fp_denorm_src 0
		.amdhsa_exception_fp_ieee_div_zero 0
		.amdhsa_exception_fp_ieee_overflow 0
		.amdhsa_exception_fp_ieee_underflow 0
		.amdhsa_exception_fp_ieee_inexact 0
		.amdhsa_exception_int_div_zero 0
	.end_amdhsa_kernel
	.section	.text._ZL24rocblas_symm_hemm_kernelILb0ELb1ELi32EPKdS1_PdEvbiiT2_T3_lllS4_lllT4_llli,"axG",@progbits,_ZL24rocblas_symm_hemm_kernelILb0ELb1ELi32EPKdS1_PdEvbiiT2_T3_lllS4_lllT4_llli,comdat
.Lfunc_end8:
	.size	_ZL24rocblas_symm_hemm_kernelILb0ELb1ELi32EPKdS1_PdEvbiiT2_T3_lllS4_lllT4_llli, .Lfunc_end8-_ZL24rocblas_symm_hemm_kernelILb0ELb1ELi32EPKdS1_PdEvbiiT2_T3_lllS4_lllT4_llli
                                        ; -- End function
	.set _ZL24rocblas_symm_hemm_kernelILb0ELb1ELi32EPKdS1_PdEvbiiT2_T3_lllS4_lllT4_llli.num_vgpr, 38
	.set _ZL24rocblas_symm_hemm_kernelILb0ELb1ELi32EPKdS1_PdEvbiiT2_T3_lllS4_lllT4_llli.num_agpr, 0
	.set _ZL24rocblas_symm_hemm_kernelILb0ELb1ELi32EPKdS1_PdEvbiiT2_T3_lllS4_lllT4_llli.numbered_sgpr, 41
	.set _ZL24rocblas_symm_hemm_kernelILb0ELb1ELi32EPKdS1_PdEvbiiT2_T3_lllS4_lllT4_llli.num_named_barrier, 0
	.set _ZL24rocblas_symm_hemm_kernelILb0ELb1ELi32EPKdS1_PdEvbiiT2_T3_lllS4_lllT4_llli.private_seg_size, 0
	.set _ZL24rocblas_symm_hemm_kernelILb0ELb1ELi32EPKdS1_PdEvbiiT2_T3_lllS4_lllT4_llli.uses_vcc, 1
	.set _ZL24rocblas_symm_hemm_kernelILb0ELb1ELi32EPKdS1_PdEvbiiT2_T3_lllS4_lllT4_llli.uses_flat_scratch, 0
	.set _ZL24rocblas_symm_hemm_kernelILb0ELb1ELi32EPKdS1_PdEvbiiT2_T3_lllS4_lllT4_llli.has_dyn_sized_stack, 0
	.set _ZL24rocblas_symm_hemm_kernelILb0ELb1ELi32EPKdS1_PdEvbiiT2_T3_lllS4_lllT4_llli.has_recursion, 0
	.set _ZL24rocblas_symm_hemm_kernelILb0ELb1ELi32EPKdS1_PdEvbiiT2_T3_lllS4_lllT4_llli.has_indirect_call, 0
	.section	.AMDGPU.csdata,"",@progbits
; Kernel info:
; codeLenInByte = 1364
; TotalNumSgprs: 43
; NumVgprs: 38
; ScratchSize: 0
; MemoryBound: 0
; FloatMode: 240
; IeeeMode: 1
; LDSByteSize: 16384 bytes/workgroup (compile time only)
; SGPRBlocks: 0
; VGPRBlocks: 2
; NumSGPRsForWavesPerEU: 43
; NumVGPRsForWavesPerEU: 38
; NamedBarCnt: 0
; Occupancy: 16
; WaveLimiterHint : 1
; COMPUTE_PGM_RSRC2:SCRATCH_EN: 0
; COMPUTE_PGM_RSRC2:USER_SGPR: 2
; COMPUTE_PGM_RSRC2:TRAP_HANDLER: 0
; COMPUTE_PGM_RSRC2:TGID_X_EN: 1
; COMPUTE_PGM_RSRC2:TGID_Y_EN: 1
; COMPUTE_PGM_RSRC2:TGID_Z_EN: 1
; COMPUTE_PGM_RSRC2:TIDIG_COMP_CNT: 1
	.section	.text._ZL25rocblas_symm_scale_kernelILi128ELi8EdPdEviiT1_T2_llli,"axG",@progbits,_ZL25rocblas_symm_scale_kernelILi128ELi8EdPdEviiT1_T2_llli,comdat
	.globl	_ZL25rocblas_symm_scale_kernelILi128ELi8EdPdEviiT1_T2_llli ; -- Begin function _ZL25rocblas_symm_scale_kernelILi128ELi8EdPdEviiT1_T2_llli
	.p2align	8
	.type	_ZL25rocblas_symm_scale_kernelILi128ELi8EdPdEviiT1_T2_llli,@function
_ZL25rocblas_symm_scale_kernelILi128ELi8EdPdEviiT1_T2_llli: ; @_ZL25rocblas_symm_scale_kernelILi128ELi8EdPdEviiT1_T2_llli
; %bb.0:
	s_load_b256 s[4:11], s[0:1], 0x8
	s_wait_kmcnt 0x0
	v_cmp_eq_f64_e64 s2, s[4:5], 1.0
	s_and_b32 vcc_lo, exec_lo, s2
	s_cbranch_vccnz .LBB9_10
; %bb.1:
	s_load_b32 s14, s[0:1], 0x30
	s_bfe_u32 s2, ttmp6, 0x40014
	s_lshr_b32 s3, ttmp7, 16
	s_add_co_i32 s2, s2, 1
	s_bfe_u32 s13, ttmp6, 0x40008
	s_mul_i32 s12, s3, s2
	s_getreg_b32 s2, hwreg(HW_REG_IB_STS2, 6, 4)
	s_add_co_i32 s13, s13, s12
	s_cmp_eq_u32 s2, 0
	s_cselect_b32 s15, s3, s13
	s_mov_b32 s3, 0
	s_wait_kmcnt 0x0
	s_cmp_ge_u32 s15, s14
	s_cbranch_scc1 .LBB9_10
; %bb.2:
	s_bfe_u32 s12, ttmp6, 0x40010
	s_bfe_u32 s16, ttmp6, 0x4000c
	s_and_b32 s13, ttmp7, 0xffff
	s_add_co_i32 s12, s12, 1
	s_add_co_i32 s16, s16, 1
	s_mul_i32 s12, s13, s12
	s_bfe_u32 s17, ttmp6, 0x40004
	s_and_b32 s18, ttmp6, 15
	s_mul_i32 s16, ttmp9, s16
	s_add_co_i32 s17, s17, s12
	s_add_co_i32 s18, s18, s16
	v_bfe_u32 v1, v0, 10, 10
	s_cmp_eq_u32 s2, 0
	v_mov_b32_e32 v3, 0
	s_cselect_b32 s2, s13, s17
	s_load_b64 s[16:17], s[0:1], 0x0
	v_lshl_add_u32 v2, s2, 3, v1
	s_cselect_b32 s2, ttmp9, s18
	s_load_b64 s[18:19], s[0:1], 0x28
	v_and_b32_e32 v0, 0x3ff, v0
	s_lshl_b64 s[8:9], s[8:9], 3
	v_mul_u64_e32 v[4:5], s[10:11], v[2:3]
	v_mov_b32_e32 v1, v3
	s_wait_xcnt 0x0
	s_add_nc_u64 s[0:1], s[0:1], 56
	v_lshl_add_u32 v0, s2, 7, v0
	s_wait_kmcnt 0x0
	s_ashr_i32 s13, s17, 31
	s_mov_b32 s12, s17
	v_cmp_neq_f64_e64 s17, s[4:5], 0
	v_cmp_gt_u32_e64 s2, s16, v0
	v_cmp_gt_i64_e32 vcc_lo, s[12:13], v[2:3]
	s_and_b32 s16, s2, vcc_lo
	v_lshl_add_u64 v[4:5], v[4:5], 3, s[8:9]
	s_lshl_b64 s[8:9], s[10:11], 3
	s_delay_alu instid0(VALU_DEP_1) | instskip(NEXT) | instid1(VALU_DEP_1)
	v_lshl_add_u64 v[0:1], v[0:1], 3, v[4:5]
	v_add_nc_u64_e32 v[0:1], s[6:7], v[0:1]
	s_lshl_b64 s[6:7], s[18:19], 3
	s_branch .LBB9_4
.LBB9_3:                                ;   in Loop: Header=BB9_4 Depth=1
	s_or_b32 exec_lo, exec_lo, s18
	s_add_co_i32 s15, s15, 0x10000
	s_delay_alu instid0(SALU_CYCLE_1)
	s_cmp_lt_u32 s15, s14
	s_cbranch_scc0 .LBB9_10
.LBB9_4:                                ; =>This Loop Header: Depth=1
                                        ;     Child Loop BB9_8 Depth 2
	s_and_saveexec_b32 s18, s16
	s_cbranch_execz .LBB9_3
; %bb.5:                                ;   in Loop: Header=BB9_4 Depth=1
	s_load_b32 s2, s[0:1], 0x4
	s_delay_alu instid0(VALU_DEP_1) | instskip(SKIP_2) | instid1(VALU_DEP_2)
	v_mad_nc_u64_u32 v[4:5], s6, s15, v[0:1]
	v_mov_b64_e32 v[6:7], v[2:3]
	s_mov_b32 s19, 0
	v_mad_u32 v5, s7, s15, v5
	s_wait_kmcnt 0x0
	s_lshl_b32 s2, s2, 3
	s_delay_alu instid0(SALU_CYCLE_1)
	s_mul_u64 s[10:11], s[8:9], s[2:3]
	s_branch .LBB9_8
.LBB9_6:                                ;   in Loop: Header=BB9_8 Depth=2
	global_load_b64 v[8:9], v[4:5], off
	s_wait_loadcnt 0x0
	v_mul_f64_e32 v[8:9], s[4:5], v[8:9]
.LBB9_7:                                ;   in Loop: Header=BB9_8 Depth=2
	v_add_nc_u64_e32 v[6:7], s[2:3], v[6:7]
	global_store_b64 v[4:5], v[8:9], off
	s_wait_xcnt 0x0
	v_add_nc_u64_e32 v[4:5], s[10:11], v[4:5]
	v_cmp_le_i64_e32 vcc_lo, s[12:13], v[6:7]
	s_or_b32 s19, vcc_lo, s19
	s_delay_alu instid0(SALU_CYCLE_1)
	s_and_not1_b32 exec_lo, exec_lo, s19
	s_cbranch_execz .LBB9_3
.LBB9_8:                                ;   Parent Loop BB9_4 Depth=1
                                        ; =>  This Inner Loop Header: Depth=2
	s_and_not1_b32 vcc_lo, exec_lo, s17
	s_cbranch_vccz .LBB9_6
; %bb.9:                                ;   in Loop: Header=BB9_8 Depth=2
	v_mov_b64_e32 v[8:9], 0
	s_branch .LBB9_7
.LBB9_10:
	s_endpgm
	.section	.rodata,"a",@progbits
	.p2align	6, 0x0
	.amdhsa_kernel _ZL25rocblas_symm_scale_kernelILi128ELi8EdPdEviiT1_T2_llli
		.amdhsa_group_segment_fixed_size 0
		.amdhsa_private_segment_fixed_size 0
		.amdhsa_kernarg_size 312
		.amdhsa_user_sgpr_count 2
		.amdhsa_user_sgpr_dispatch_ptr 0
		.amdhsa_user_sgpr_queue_ptr 0
		.amdhsa_user_sgpr_kernarg_segment_ptr 1
		.amdhsa_user_sgpr_dispatch_id 0
		.amdhsa_user_sgpr_kernarg_preload_length 0
		.amdhsa_user_sgpr_kernarg_preload_offset 0
		.amdhsa_user_sgpr_private_segment_size 0
		.amdhsa_wavefront_size32 1
		.amdhsa_uses_dynamic_stack 0
		.amdhsa_enable_private_segment 0
		.amdhsa_system_sgpr_workgroup_id_x 1
		.amdhsa_system_sgpr_workgroup_id_y 1
		.amdhsa_system_sgpr_workgroup_id_z 1
		.amdhsa_system_sgpr_workgroup_info 0
		.amdhsa_system_vgpr_workitem_id 1
		.amdhsa_next_free_vgpr 10
		.amdhsa_next_free_sgpr 20
		.amdhsa_named_barrier_count 0
		.amdhsa_reserve_vcc 1
		.amdhsa_float_round_mode_32 0
		.amdhsa_float_round_mode_16_64 0
		.amdhsa_float_denorm_mode_32 3
		.amdhsa_float_denorm_mode_16_64 3
		.amdhsa_fp16_overflow 0
		.amdhsa_memory_ordered 1
		.amdhsa_forward_progress 1
		.amdhsa_inst_pref_size 4
		.amdhsa_round_robin_scheduling 0
		.amdhsa_exception_fp_ieee_invalid_op 0
		.amdhsa_exception_fp_denorm_src 0
		.amdhsa_exception_fp_ieee_div_zero 0
		.amdhsa_exception_fp_ieee_overflow 0
		.amdhsa_exception_fp_ieee_underflow 0
		.amdhsa_exception_fp_ieee_inexact 0
		.amdhsa_exception_int_div_zero 0
	.end_amdhsa_kernel
	.section	.text._ZL25rocblas_symm_scale_kernelILi128ELi8EdPdEviiT1_T2_llli,"axG",@progbits,_ZL25rocblas_symm_scale_kernelILi128ELi8EdPdEviiT1_T2_llli,comdat
.Lfunc_end9:
	.size	_ZL25rocblas_symm_scale_kernelILi128ELi8EdPdEviiT1_T2_llli, .Lfunc_end9-_ZL25rocblas_symm_scale_kernelILi128ELi8EdPdEviiT1_T2_llli
                                        ; -- End function
	.set _ZL25rocblas_symm_scale_kernelILi128ELi8EdPdEviiT1_T2_llli.num_vgpr, 10
	.set _ZL25rocblas_symm_scale_kernelILi128ELi8EdPdEviiT1_T2_llli.num_agpr, 0
	.set _ZL25rocblas_symm_scale_kernelILi128ELi8EdPdEviiT1_T2_llli.numbered_sgpr, 20
	.set _ZL25rocblas_symm_scale_kernelILi128ELi8EdPdEviiT1_T2_llli.num_named_barrier, 0
	.set _ZL25rocblas_symm_scale_kernelILi128ELi8EdPdEviiT1_T2_llli.private_seg_size, 0
	.set _ZL25rocblas_symm_scale_kernelILi128ELi8EdPdEviiT1_T2_llli.uses_vcc, 1
	.set _ZL25rocblas_symm_scale_kernelILi128ELi8EdPdEviiT1_T2_llli.uses_flat_scratch, 0
	.set _ZL25rocblas_symm_scale_kernelILi128ELi8EdPdEviiT1_T2_llli.has_dyn_sized_stack, 0
	.set _ZL25rocblas_symm_scale_kernelILi128ELi8EdPdEviiT1_T2_llli.has_recursion, 0
	.set _ZL25rocblas_symm_scale_kernelILi128ELi8EdPdEviiT1_T2_llli.has_indirect_call, 0
	.section	.AMDGPU.csdata,"",@progbits
; Kernel info:
; codeLenInByte = 484
; TotalNumSgprs: 22
; NumVgprs: 10
; ScratchSize: 0
; MemoryBound: 1
; FloatMode: 240
; IeeeMode: 1
; LDSByteSize: 0 bytes/workgroup (compile time only)
; SGPRBlocks: 0
; VGPRBlocks: 0
; NumSGPRsForWavesPerEU: 22
; NumVGPRsForWavesPerEU: 10
; NamedBarCnt: 0
; Occupancy: 16
; WaveLimiterHint : 0
; COMPUTE_PGM_RSRC2:SCRATCH_EN: 0
; COMPUTE_PGM_RSRC2:USER_SGPR: 2
; COMPUTE_PGM_RSRC2:TRAP_HANDLER: 0
; COMPUTE_PGM_RSRC2:TGID_X_EN: 1
; COMPUTE_PGM_RSRC2:TGID_Y_EN: 1
; COMPUTE_PGM_RSRC2:TGID_Z_EN: 1
; COMPUTE_PGM_RSRC2:TIDIG_COMP_CNT: 1
	.section	.text._ZL24rocblas_symm_hemm_kernelILb0ELb0ELi32EdPKdPdEvbiiT2_T3_lllS4_lllT4_llli,"axG",@progbits,_ZL24rocblas_symm_hemm_kernelILb0ELb0ELi32EdPKdPdEvbiiT2_T3_lllS4_lllT4_llli,comdat
	.globl	_ZL24rocblas_symm_hemm_kernelILb0ELb0ELi32EdPKdPdEvbiiT2_T3_lllS4_lllT4_llli ; -- Begin function _ZL24rocblas_symm_hemm_kernelILb0ELb0ELi32EdPKdPdEvbiiT2_T3_lllS4_lllT4_llli
	.p2align	8
	.type	_ZL24rocblas_symm_hemm_kernelILb0ELb0ELi32EdPKdPdEvbiiT2_T3_lllS4_lllT4_llli,@function
_ZL24rocblas_symm_hemm_kernelILb0ELb0ELi32EdPKdPdEvbiiT2_T3_lllS4_lllT4_llli: ; @_ZL24rocblas_symm_hemm_kernelILb0ELb0ELi32EdPKdPdEvbiiT2_T3_lllS4_lllT4_llli
; %bb.0:
	s_load_b512 s[4:19], s[0:1], 0x10
	s_wait_kmcnt 0x0
	v_cmp_eq_f64_e64 s2, s[4:5], 0
	s_and_b32 vcc_lo, exec_lo, s2
	s_cbranch_vccnz .LBB10_16
; %bb.1:
	s_load_b32 s31, s[0:1], 0x78
	s_bfe_u32 s2, ttmp6, 0x40014
	s_lshr_b32 s20, ttmp7, 16
	s_add_co_i32 s2, s2, 1
	s_bfe_u32 s21, ttmp6, 0x40008
	s_mul_i32 s2, s20, s2
	s_getreg_b32 s3, hwreg(HW_REG_IB_STS2, 6, 4)
	s_add_co_i32 s21, s21, s2
	s_cmp_eq_u32 s3, 0
	s_mov_b32 s35, 0
	s_cselect_b32 s34, s20, s21
	s_wait_kmcnt 0x0
	s_cmp_ge_u32 s34, s31
	s_cbranch_scc1 .LBB10_16
; %bb.2:
	s_clause 0x1
	s_load_b96 s[28:30], s[0:1], 0x0
	s_load_b256 s[20:27], s[0:1], 0x50
	s_lshl_b64 s[38:39], s[8:9], 3
	s_lshl_b64 s[16:17], s[16:17], 3
	v_bfe_u32 v18, v0, 10, 10
	v_and_b32_e32 v19, 0x3ff, v0
	s_load_b64 s[8:9], s[0:1], 0x70
	s_add_nc_u64 s[6:7], s[6:7], s[38:39]
	s_add_nc_u64 s[14:15], s[14:15], s[16:17]
	s_delay_alu instid0(VALU_DEP_1) | instskip(SKIP_1) | instid1(VALU_DEP_1)
	v_dual_lshlrev_b32 v0, 3, v18 :: v_dual_lshlrev_b32 v20, 8, v19
	s_add_nc_u64 s[16:17], s[0:1], 0x80
	v_or_b32_e32 v21, 0x2000, v0
	s_delay_alu instid0(VALU_DEP_2) | instskip(NEXT) | instid1(VALU_DEP_2)
	v_add_nc_u32_e32 v22, v20, v0
	v_add_nc_u32_e32 v23, v21, v20
	s_wait_kmcnt 0x0
	s_bitcmp1_b32 s28, 0
	v_add_nc_u32_e32 v24, 0x800, v21
	s_cselect_b32 s2, -1, 0
	s_add_co_i32 s28, s30, -1
	s_bfe_u32 s36, ttmp6, 0x4000c
	s_bfe_u32 s40, ttmp6, 0x40010
	s_ashr_i32 s42, s28, 31
	s_and_b32 s37, ttmp7, 0xffff
	s_add_co_i32 s36, s36, 1
	s_add_co_i32 s40, s40, 1
	s_lshr_b32 s42, s42, 27
	s_and_b32 s33, ttmp6, 15
	s_bfe_u32 s41, ttmp6, 0x40004
	s_mul_i32 s36, ttmp9, s36
	s_mul_i32 s40, s37, s40
	s_add_co_i32 s28, s28, s42
	s_lshl_b64 s[24:25], s[24:25], 3
	s_add_co_i32 s33, s33, s36
	s_add_co_i32 s41, s41, s40
	s_ashr_i32 s28, s28, 5
	s_cmp_eq_u32 s3, 0
	s_add_nc_u64 s[22:23], s[22:23], s[24:25]
	s_cselect_b32 s3, ttmp9, s33
	s_cselect_b32 s33, s37, s41
	v_lshl_add_u32 v0, s3, 5, v19
	s_cmp_le_i32 s33, s28
	v_add_nc_u32_e32 v25, 0x1800, v21
	s_cselect_b32 s36, -1, 0
	s_cmp_gt_i32 s29, 0
	v_ashrrev_i32_e32 v1, 31, v0
	v_cmp_gt_i32_e64 s3, s29, v0
	s_cselect_b32 s37, -1, 0
	v_lshl_add_u64 v[2:3], v[0:1], 3, s[22:23]
	v_add_nc_u32_e32 v1, 0x1000, v21
	s_branch .LBB10_4
.LBB10_3:                               ;   in Loop: Header=BB10_4 Depth=1
	s_add_co_i32 s34, s34, 0x10000
	s_delay_alu instid0(SALU_CYCLE_1)
	s_cmp_lt_u32 s34, s31
	s_cbranch_scc0 .LBB10_16
.LBB10_4:                               ; =>This Loop Header: Depth=1
                                        ;     Child Loop BB10_7 Depth 2
                                        ;       Child Loop BB10_10 Depth 3
	s_and_not1_b32 vcc_lo, exec_lo, s36
	s_cbranch_vccnz .LBB10_3
; %bb.5:                                ;   in Loop: Header=BB10_4 Depth=1
	s_load_b32 s1, s[16:17], 0x4
	s_mul_u64 s[38:39], s[8:9], s[34:35]
	s_mul_u64 s[22:23], s[12:13], s[34:35]
	;; [unrolled: 1-line block ×3, first 2 shown]
	v_lshl_add_u64 v[4:5], s[38:39], 3, v[2:3]
	s_lshl_b64 s[22:23], s[22:23], 3
	s_lshl_b64 s[24:25], s[24:25], 3
	s_add_nc_u64 s[22:23], s[6:7], s[22:23]
	s_add_nc_u64 s[24:25], s[14:15], s[24:25]
	s_mov_b32 s38, s33
	s_branch .LBB10_7
.LBB10_6:                               ;   in Loop: Header=BB10_7 Depth=2
	s_wait_kmcnt 0x0
	s_add_co_i32 s38, s38, s1
	s_delay_alu instid0(SALU_CYCLE_1)
	s_cmp_gt_i32 s38, s28
	s_cbranch_scc1 .LBB10_3
.LBB10_7:                               ;   Parent Loop BB10_4 Depth=1
                                        ; =>  This Loop Header: Depth=2
                                        ;       Child Loop BB10_10 Depth 3
	s_and_not1_b32 vcc_lo, exec_lo, s37
	s_cbranch_vccnz .LBB10_6
; %bb.8:                                ;   in Loop: Header=BB10_7 Depth=2
	v_lshl_add_u32 v6, s38, 5, v18
	s_mov_b32 s40, 0
	s_delay_alu instid0(VALU_DEP_1) | instskip(SKIP_1) | instid1(VALU_DEP_2)
	v_ashrrev_i32_e32 v7, 31, v6
	v_cmp_gt_i32_e32 vcc_lo, s30, v6
	v_mul_u64_e32 v[8:9], s[18:19], v[6:7]
	v_mul_u64_e32 v[10:11], s[26:27], v[6:7]
	s_and_b32 s39, s3, vcc_lo
	s_delay_alu instid0(VALU_DEP_2) | instskip(NEXT) | instid1(VALU_DEP_2)
	v_lshl_add_u64 v[6:7], v[8:9], 3, s[24:25]
	v_lshl_add_u64 v[8:9], v[10:11], 3, v[4:5]
	s_branch .LBB10_10
.LBB10_9:                               ;   in Loop: Header=BB10_10 Depth=3
	s_wait_xcnt 0x0
	s_or_b32 exec_lo, exec_lo, s0
	s_add_co_i32 s40, s40, 32
	s_wait_storecnt 0x0
	s_cmp_ge_i32 s40, s29
	s_barrier_signal -1
	s_barrier_wait -1
	s_cbranch_scc1 .LBB10_6
.LBB10_10:                              ;   Parent Loop BB10_4 Depth=1
                                        ;     Parent Loop BB10_7 Depth=2
                                        ; =>    This Inner Loop Header: Depth=3
	v_add_nc_u32_e32 v10, s40, v18
	v_mov_b64_e32 v[14:15], 0
	s_mov_b32 s41, exec_lo
	s_delay_alu instid0(VALU_DEP_2) | instskip(NEXT) | instid1(VALU_DEP_1)
	v_dual_cndmask_b32 v11, v10, v0, s2 :: v_dual_cndmask_b32 v12, v0, v10, s2
	v_cmp_gt_i32_e64 s0, v11, v12
	s_delay_alu instid0(VALU_DEP_1) | instskip(SKIP_1) | instid1(VALU_DEP_2)
	v_dual_cndmask_b32 v12, v0, v10, s0 :: v_dual_cndmask_b32 v16, v10, v0, s0
	v_mov_b64_e32 v[10:11], 0
	v_max_i32_e32 v13, v12, v16
	s_delay_alu instid0(VALU_DEP_1)
	v_cmpx_gt_i32_e64 s29, v13
	s_cbranch_execz .LBB10_12
; %bb.11:                               ;   in Loop: Header=BB10_10 Depth=3
	v_ashrrev_i32_e32 v17, 31, v16
	v_ashrrev_i32_e32 v13, 31, v12
	s_delay_alu instid0(VALU_DEP_2) | instskip(NEXT) | instid1(VALU_DEP_1)
	v_mul_u64_e32 v[14:15], s[10:11], v[16:17]
	v_lshl_add_u64 v[14:15], v[14:15], 3, s[22:23]
	s_delay_alu instid0(VALU_DEP_1)
	v_lshl_add_u64 v[12:13], v[12:13], 3, v[14:15]
	global_load_b64 v[14:15], v[12:13], off
.LBB10_12:                              ;   in Loop: Header=BB10_10 Depth=3
	s_wait_xcnt 0x0
	s_or_b32 exec_lo, exec_lo, s41
	v_add_nc_u32_e32 v12, s40, v19
	s_wait_loadcnt 0x0
	ds_store_b64 v22, v[14:15]
	v_cmp_gt_i32_e64 s0, s29, v12
	s_and_b32 s41, s0, vcc_lo
	s_delay_alu instid0(SALU_CYCLE_1)
	s_and_saveexec_b32 s0, s41
	s_cbranch_execz .LBB10_14
; %bb.13:                               ;   in Loop: Header=BB10_10 Depth=3
	v_ashrrev_i32_e32 v13, 31, v12
	s_delay_alu instid0(VALU_DEP_1)
	v_lshl_add_u64 v[10:11], v[12:13], 3, v[6:7]
	global_load_b64 v[10:11], v[10:11], off
.LBB10_14:                              ;   in Loop: Header=BB10_10 Depth=3
	s_wait_xcnt 0x0
	s_or_b32 exec_lo, exec_lo, s0
	s_wait_loadcnt 0x0
	ds_store_b64 v23, v[10:11]
	s_wait_dscnt 0x0
	s_barrier_signal -1
	s_barrier_wait -1
	s_and_saveexec_b32 s0, s39
	s_cbranch_execz .LBB10_9
; %bb.15:                               ;   in Loop: Header=BB10_10 Depth=3
	ds_load_2addr_b64 v[10:13], v21 offset1:32
	ds_load_b128 v[14:17], v20
	ds_load_b128 v[26:29], v20 offset:16
	s_wait_dscnt 0x1
	v_fma_f64 v[10:11], v[14:15], v[10:11], 0
	s_delay_alu instid0(VALU_DEP_1) | instskip(SKIP_3) | instid1(VALU_DEP_1)
	v_fmac_f64_e32 v[10:11], v[16:17], v[12:13]
	ds_load_2addr_b64 v[12:15], v21 offset0:64 offset1:96
	s_wait_dscnt 0x0
	v_fmac_f64_e32 v[10:11], v[26:27], v[12:13]
	v_fmac_f64_e32 v[10:11], v[28:29], v[14:15]
	ds_load_2addr_b64 v[12:15], v21 offset0:128 offset1:160
	ds_load_b128 v[26:29], v20 offset:32
	ds_load_b128 v[30:33], v20 offset:48
	s_wait_dscnt 0x1
	v_fmac_f64_e32 v[10:11], v[26:27], v[12:13]
	s_delay_alu instid0(VALU_DEP_1) | instskip(SKIP_3) | instid1(VALU_DEP_1)
	v_fmac_f64_e32 v[10:11], v[28:29], v[14:15]
	ds_load_2addr_b64 v[12:15], v21 offset0:192 offset1:224
	s_wait_dscnt 0x0
	v_fmac_f64_e32 v[10:11], v[30:31], v[12:13]
	v_fmac_f64_e32 v[10:11], v[32:33], v[14:15]
	ds_load_2addr_b64 v[12:15], v24 offset1:32
	ds_load_b128 v[26:29], v20 offset:64
	ds_load_b128 v[30:33], v20 offset:80
	s_wait_dscnt 0x1
	v_fmac_f64_e32 v[10:11], v[26:27], v[12:13]
	s_delay_alu instid0(VALU_DEP_1) | instskip(SKIP_3) | instid1(VALU_DEP_1)
	v_fmac_f64_e32 v[10:11], v[28:29], v[14:15]
	ds_load_2addr_b64 v[12:15], v24 offset0:64 offset1:96
	s_wait_dscnt 0x0
	v_fmac_f64_e32 v[10:11], v[30:31], v[12:13]
	v_fmac_f64_e32 v[10:11], v[32:33], v[14:15]
	ds_load_2addr_b64 v[12:15], v24 offset0:128 offset1:160
	ds_load_b128 v[26:29], v20 offset:96
	ds_load_b128 v[30:33], v20 offset:112
	s_wait_dscnt 0x1
	v_fmac_f64_e32 v[10:11], v[26:27], v[12:13]
	s_delay_alu instid0(VALU_DEP_1) | instskip(SKIP_3) | instid1(VALU_DEP_1)
	v_fmac_f64_e32 v[10:11], v[28:29], v[14:15]
	ds_load_2addr_b64 v[12:15], v24 offset0:192 offset1:224
	s_wait_dscnt 0x0
	v_fmac_f64_e32 v[10:11], v[30:31], v[12:13]
	v_fmac_f64_e32 v[10:11], v[32:33], v[14:15]
	ds_load_2addr_b64 v[12:15], v1 offset1:32
	ds_load_b128 v[26:29], v20 offset:128
	ds_load_b128 v[30:33], v20 offset:144
	s_wait_dscnt 0x1
	v_fmac_f64_e32 v[10:11], v[26:27], v[12:13]
	s_delay_alu instid0(VALU_DEP_1) | instskip(SKIP_3) | instid1(VALU_DEP_1)
	v_fmac_f64_e32 v[10:11], v[28:29], v[14:15]
	ds_load_2addr_b64 v[12:15], v1 offset0:64 offset1:96
	s_wait_dscnt 0x0
	v_fmac_f64_e32 v[10:11], v[30:31], v[12:13]
	v_fmac_f64_e32 v[10:11], v[32:33], v[14:15]
	ds_load_2addr_b64 v[12:15], v1 offset0:128 offset1:160
	ds_load_b128 v[26:29], v20 offset:160
	ds_load_b128 v[30:33], v20 offset:176
	global_load_b64 v[16:17], v[8:9], off
	s_wait_dscnt 0x1
	v_fmac_f64_e32 v[10:11], v[26:27], v[12:13]
	s_delay_alu instid0(VALU_DEP_1) | instskip(SKIP_3) | instid1(VALU_DEP_1)
	v_fmac_f64_e32 v[10:11], v[28:29], v[14:15]
	ds_load_2addr_b64 v[12:15], v1 offset0:192 offset1:224
	s_wait_dscnt 0x0
	v_fmac_f64_e32 v[10:11], v[30:31], v[12:13]
	v_fmac_f64_e32 v[10:11], v[32:33], v[14:15]
	ds_load_2addr_b64 v[12:15], v25 offset1:32
	ds_load_b128 v[26:29], v20 offset:192
	ds_load_b128 v[30:33], v20 offset:208
	s_wait_dscnt 0x1
	v_fmac_f64_e32 v[10:11], v[26:27], v[12:13]
	s_delay_alu instid0(VALU_DEP_1) | instskip(SKIP_3) | instid1(VALU_DEP_1)
	v_fmac_f64_e32 v[10:11], v[28:29], v[14:15]
	ds_load_2addr_b64 v[12:15], v25 offset0:64 offset1:96
	s_wait_dscnt 0x0
	v_fmac_f64_e32 v[10:11], v[30:31], v[12:13]
	v_fmac_f64_e32 v[10:11], v[32:33], v[14:15]
	ds_load_2addr_b64 v[12:15], v25 offset0:128 offset1:160
	ds_load_b128 v[26:29], v20 offset:224
	ds_load_b128 v[30:33], v20 offset:240
	s_wait_dscnt 0x1
	v_fmac_f64_e32 v[10:11], v[26:27], v[12:13]
	s_delay_alu instid0(VALU_DEP_1) | instskip(SKIP_3) | instid1(VALU_DEP_1)
	v_fmac_f64_e32 v[10:11], v[28:29], v[14:15]
	ds_load_2addr_b64 v[12:15], v25 offset0:192 offset1:224
	s_wait_dscnt 0x0
	v_fmac_f64_e32 v[10:11], v[30:31], v[12:13]
	v_fmac_f64_e32 v[10:11], v[32:33], v[14:15]
	s_wait_loadcnt 0x0
	s_delay_alu instid0(VALU_DEP_1)
	v_fmac_f64_e32 v[16:17], s[4:5], v[10:11]
	global_store_b64 v[8:9], v[16:17], off
	s_branch .LBB10_9
.LBB10_16:
	s_endpgm
	.section	.rodata,"a",@progbits
	.p2align	6, 0x0
	.amdhsa_kernel _ZL24rocblas_symm_hemm_kernelILb0ELb0ELi32EdPKdPdEvbiiT2_T3_lllS4_lllT4_llli
		.amdhsa_group_segment_fixed_size 16384
		.amdhsa_private_segment_fixed_size 0
		.amdhsa_kernarg_size 384
		.amdhsa_user_sgpr_count 2
		.amdhsa_user_sgpr_dispatch_ptr 0
		.amdhsa_user_sgpr_queue_ptr 0
		.amdhsa_user_sgpr_kernarg_segment_ptr 1
		.amdhsa_user_sgpr_dispatch_id 0
		.amdhsa_user_sgpr_kernarg_preload_length 0
		.amdhsa_user_sgpr_kernarg_preload_offset 0
		.amdhsa_user_sgpr_private_segment_size 0
		.amdhsa_wavefront_size32 1
		.amdhsa_uses_dynamic_stack 0
		.amdhsa_enable_private_segment 0
		.amdhsa_system_sgpr_workgroup_id_x 1
		.amdhsa_system_sgpr_workgroup_id_y 1
		.amdhsa_system_sgpr_workgroup_id_z 1
		.amdhsa_system_sgpr_workgroup_info 0
		.amdhsa_system_vgpr_workitem_id 1
		.amdhsa_next_free_vgpr 34
		.amdhsa_next_free_sgpr 43
		.amdhsa_named_barrier_count 0
		.amdhsa_reserve_vcc 1
		.amdhsa_float_round_mode_32 0
		.amdhsa_float_round_mode_16_64 0
		.amdhsa_float_denorm_mode_32 3
		.amdhsa_float_denorm_mode_16_64 3
		.amdhsa_fp16_overflow 0
		.amdhsa_memory_ordered 1
		.amdhsa_forward_progress 1
		.amdhsa_inst_pref_size 11
		.amdhsa_round_robin_scheduling 0
		.amdhsa_exception_fp_ieee_invalid_op 0
		.amdhsa_exception_fp_denorm_src 0
		.amdhsa_exception_fp_ieee_div_zero 0
		.amdhsa_exception_fp_ieee_overflow 0
		.amdhsa_exception_fp_ieee_underflow 0
		.amdhsa_exception_fp_ieee_inexact 0
		.amdhsa_exception_int_div_zero 0
	.end_amdhsa_kernel
	.section	.text._ZL24rocblas_symm_hemm_kernelILb0ELb0ELi32EdPKdPdEvbiiT2_T3_lllS4_lllT4_llli,"axG",@progbits,_ZL24rocblas_symm_hemm_kernelILb0ELb0ELi32EdPKdPdEvbiiT2_T3_lllS4_lllT4_llli,comdat
.Lfunc_end10:
	.size	_ZL24rocblas_symm_hemm_kernelILb0ELb0ELi32EdPKdPdEvbiiT2_T3_lllS4_lllT4_llli, .Lfunc_end10-_ZL24rocblas_symm_hemm_kernelILb0ELb0ELi32EdPKdPdEvbiiT2_T3_lllS4_lllT4_llli
                                        ; -- End function
	.set _ZL24rocblas_symm_hemm_kernelILb0ELb0ELi32EdPKdPdEvbiiT2_T3_lllS4_lllT4_llli.num_vgpr, 34
	.set _ZL24rocblas_symm_hemm_kernelILb0ELb0ELi32EdPKdPdEvbiiT2_T3_lllS4_lllT4_llli.num_agpr, 0
	.set _ZL24rocblas_symm_hemm_kernelILb0ELb0ELi32EdPKdPdEvbiiT2_T3_lllS4_lllT4_llli.numbered_sgpr, 43
	.set _ZL24rocblas_symm_hemm_kernelILb0ELb0ELi32EdPKdPdEvbiiT2_T3_lllS4_lllT4_llli.num_named_barrier, 0
	.set _ZL24rocblas_symm_hemm_kernelILb0ELb0ELi32EdPKdPdEvbiiT2_T3_lllS4_lllT4_llli.private_seg_size, 0
	.set _ZL24rocblas_symm_hemm_kernelILb0ELb0ELi32EdPKdPdEvbiiT2_T3_lllS4_lllT4_llli.uses_vcc, 1
	.set _ZL24rocblas_symm_hemm_kernelILb0ELb0ELi32EdPKdPdEvbiiT2_T3_lllS4_lllT4_llli.uses_flat_scratch, 0
	.set _ZL24rocblas_symm_hemm_kernelILb0ELb0ELi32EdPKdPdEvbiiT2_T3_lllS4_lllT4_llli.has_dyn_sized_stack, 0
	.set _ZL24rocblas_symm_hemm_kernelILb0ELb0ELi32EdPKdPdEvbiiT2_T3_lllS4_lllT4_llli.has_recursion, 0
	.set _ZL24rocblas_symm_hemm_kernelILb0ELb0ELi32EdPKdPdEvbiiT2_T3_lllS4_lllT4_llli.has_indirect_call, 0
	.section	.AMDGPU.csdata,"",@progbits
; Kernel info:
; codeLenInByte = 1352
; TotalNumSgprs: 45
; NumVgprs: 34
; ScratchSize: 0
; MemoryBound: 0
; FloatMode: 240
; IeeeMode: 1
; LDSByteSize: 16384 bytes/workgroup (compile time only)
; SGPRBlocks: 0
; VGPRBlocks: 2
; NumSGPRsForWavesPerEU: 45
; NumVGPRsForWavesPerEU: 34
; NamedBarCnt: 0
; Occupancy: 16
; WaveLimiterHint : 1
; COMPUTE_PGM_RSRC2:SCRATCH_EN: 0
; COMPUTE_PGM_RSRC2:USER_SGPR: 2
; COMPUTE_PGM_RSRC2:TRAP_HANDLER: 0
; COMPUTE_PGM_RSRC2:TGID_X_EN: 1
; COMPUTE_PGM_RSRC2:TGID_Y_EN: 1
; COMPUTE_PGM_RSRC2:TGID_Z_EN: 1
; COMPUTE_PGM_RSRC2:TIDIG_COMP_CNT: 1
	.section	.text._ZL24rocblas_symm_hemm_kernelILb0ELb1ELi32EdPKdPdEvbiiT2_T3_lllS4_lllT4_llli,"axG",@progbits,_ZL24rocblas_symm_hemm_kernelILb0ELb1ELi32EdPKdPdEvbiiT2_T3_lllS4_lllT4_llli,comdat
	.globl	_ZL24rocblas_symm_hemm_kernelILb0ELb1ELi32EdPKdPdEvbiiT2_T3_lllS4_lllT4_llli ; -- Begin function _ZL24rocblas_symm_hemm_kernelILb0ELb1ELi32EdPKdPdEvbiiT2_T3_lllS4_lllT4_llli
	.p2align	8
	.type	_ZL24rocblas_symm_hemm_kernelILb0ELb1ELi32EdPKdPdEvbiiT2_T3_lllS4_lllT4_llli,@function
_ZL24rocblas_symm_hemm_kernelILb0ELb1ELi32EdPKdPdEvbiiT2_T3_lllS4_lllT4_llli: ; @_ZL24rocblas_symm_hemm_kernelILb0ELb1ELi32EdPKdPdEvbiiT2_T3_lllS4_lllT4_llli
; %bb.0:
	s_load_b512 s[4:19], s[0:1], 0x10
	s_wait_kmcnt 0x0
	v_cmp_eq_f64_e64 s2, s[4:5], 0
	s_and_b32 vcc_lo, exec_lo, s2
	s_cbranch_vccnz .LBB11_16
; %bb.1:
	s_load_b32 s31, s[0:1], 0x78
	s_bfe_u32 s2, ttmp6, 0x40014
	s_lshr_b32 s20, ttmp7, 16
	s_add_co_i32 s2, s2, 1
	s_bfe_u32 s21, ttmp6, 0x40008
	s_mul_i32 s2, s20, s2
	s_getreg_b32 s3, hwreg(HW_REG_IB_STS2, 6, 4)
	s_add_co_i32 s21, s21, s2
	s_cmp_eq_u32 s3, 0
	s_mov_b32 s35, 0
	s_cselect_b32 s34, s20, s21
	s_wait_kmcnt 0x0
	s_cmp_ge_u32 s34, s31
	s_cbranch_scc1 .LBB11_16
; %bb.2:
	s_clause 0x1
	s_load_b96 s[28:30], s[0:1], 0x0
	s_load_b256 s[20:27], s[0:1], 0x50
	s_lshl_b64 s[36:37], s[8:9], 3
	v_bfe_u32 v20, v0, 10, 10
	v_and_b32_e32 v21, 0x3ff, v0
	s_add_nc_u64 s[6:7], s[6:7], s[36:37]
	s_delay_alu instid0(VALU_DEP_1) | instskip(NEXT) | instid1(VALU_DEP_1)
	v_dual_lshlrev_b32 v1, 3, v20 :: v_dual_lshlrev_b32 v22, 8, v21
	v_or_b32_e32 v23, 0x2000, v1
	s_delay_alu instid0(VALU_DEP_1)
	v_dual_add_nc_u32 v24, v22, v1 :: v_dual_add_nc_u32 v25, v23, v22
	v_add_nc_u32_e32 v26, 0x800, v23
	s_wait_kmcnt 0x0
	s_bitcmp1_b32 s28, 0
	v_add_nc_u32_e32 v27, 0x1000, v23
	s_cselect_b32 s2, -1, 0
	s_add_co_i32 s8, s30, -1
	s_lshl_b64 s[38:39], s[16:17], 3
	s_bfe_u32 s16, ttmp6, 0x4000c
	s_bfe_u32 s28, ttmp6, 0x40010
	s_ashr_i32 s40, s8, 31
	s_and_b32 s17, ttmp7, 0xffff
	s_add_co_i32 s16, s16, 1
	s_add_co_i32 s28, s28, 1
	s_lshr_b32 s40, s40, 27
	s_and_b32 s9, ttmp6, 15
	s_bfe_u32 s33, ttmp6, 0x40004
	s_mul_i32 s16, ttmp9, s16
	s_mul_i32 s28, s17, s28
	s_add_co_i32 s8, s8, s40
	s_lshl_b64 s[24:25], s[24:25], 3
	s_add_co_i32 s9, s9, s16
	s_add_co_i32 s33, s33, s28
	s_ashr_i32 s16, s8, 5
	s_cmp_eq_u32 s3, 0
	s_add_nc_u64 s[14:15], s[14:15], s[38:39]
	s_cselect_b32 s3, ttmp9, s9
	s_load_b64 s[8:9], s[0:1], 0x70
	v_lshl_add_u32 v0, s3, 5, v21
	s_add_nc_u64 s[24:25], s[22:23], s[24:25]
	s_cselect_b32 s17, s17, s33
	v_add_nc_u32_e32 v28, 0x1800, v23
	s_cmp_le_i32 s17, s16
	v_ashrrev_i32_e32 v1, 31, v0
	v_cmp_gt_i32_e64 s3, s29, v0
	s_cselect_b32 s22, -1, 0
	s_cmp_gt_i32 s30, 0
	s_wait_xcnt 0x0
	s_add_nc_u64 s[0:1], s[0:1], 0x80
	v_lshlrev_b64_e32 v[2:3], 3, v[0:1]
	s_cselect_b32 s23, -1, 0
	s_delay_alu instid0(VALU_DEP_1)
	v_add_nc_u64_e32 v[0:1], s[14:15], v[2:3]
	v_add_nc_u64_e32 v[2:3], s[24:25], v[2:3]
	s_branch .LBB11_4
.LBB11_3:                               ;   in Loop: Header=BB11_4 Depth=1
	s_add_co_i32 s34, s34, 0x10000
	s_delay_alu instid0(SALU_CYCLE_1)
	s_cmp_lt_u32 s34, s31
	s_cbranch_scc0 .LBB11_16
.LBB11_4:                               ; =>This Loop Header: Depth=1
                                        ;     Child Loop BB11_7 Depth 2
                                        ;       Child Loop BB11_10 Depth 3
	s_and_not1_b32 vcc_lo, exec_lo, s22
	s_cbranch_vccnz .LBB11_3
; %bb.5:                                ;   in Loop: Header=BB11_4 Depth=1
	s_load_b32 s24, s[0:1], 0x4
	s_mul_u64 s[28:29], s[20:21], s[34:35]
	s_wait_kmcnt 0x0
	s_mul_u64 s[36:37], s[8:9], s[34:35]
	s_mul_u64 s[14:15], s[12:13], s[34:35]
	v_lshl_add_u64 v[4:5], s[28:29], 3, v[0:1]
	v_lshl_add_u64 v[6:7], s[36:37], 3, v[2:3]
	s_lshl_b64 s[14:15], s[14:15], 3
	s_mov_b32 s25, s17
	s_add_nc_u64 s[14:15], s[6:7], s[14:15]
	s_branch .LBB11_7
.LBB11_6:                               ;   in Loop: Header=BB11_7 Depth=2
	s_add_co_i32 s25, s25, s24
	s_delay_alu instid0(SALU_CYCLE_1)
	s_cmp_gt_i32 s25, s16
	s_cbranch_scc1 .LBB11_3
.LBB11_7:                               ;   Parent Loop BB11_4 Depth=1
                                        ; =>  This Loop Header: Depth=2
                                        ;       Child Loop BB11_10 Depth 3
	s_and_not1_b32 vcc_lo, exec_lo, s23
	s_cbranch_vccnz .LBB11_6
; %bb.8:                                ;   in Loop: Header=BB11_7 Depth=2
	v_lshl_add_u32 v8, s25, 5, v20
	s_mov_b32 s29, 0
	s_delay_alu instid0(VALU_DEP_1) | instskip(SKIP_1) | instid1(VALU_DEP_2)
	v_ashrrev_i32_e32 v9, 31, v8
	v_cmp_gt_i32_e32 vcc_lo, s30, v8
	v_mul_u64_e32 v[10:11], s[26:27], v[8:9]
	s_and_b32 s28, s3, vcc_lo
	s_delay_alu instid0(VALU_DEP_1)
	v_lshl_add_u64 v[10:11], v[10:11], 3, v[6:7]
	s_branch .LBB11_10
.LBB11_9:                               ;   in Loop: Header=BB11_10 Depth=3
	s_wait_xcnt 0x0
	s_or_b32 exec_lo, exec_lo, s33
	s_add_co_i32 s29, s29, 32
	s_wait_storecnt 0x0
	s_cmp_ge_i32 s29, s30
	s_barrier_signal -1
	s_barrier_wait -1
	s_cbranch_scc1 .LBB11_6
.LBB11_10:                              ;   Parent Loop BB11_4 Depth=1
                                        ;     Parent Loop BB11_7 Depth=2
                                        ; =>    This Inner Loop Header: Depth=3
	v_add_nc_u32_e32 v16, s29, v20
	v_mov_b64_e32 v[12:13], 0
	v_mov_b64_e32 v[14:15], 0
	s_delay_alu instid0(VALU_DEP_3) | instskip(SKIP_1) | instid1(SALU_CYCLE_1)
	v_cmp_gt_i32_e32 vcc_lo, s30, v16
	s_and_b32 s36, s3, vcc_lo
	s_and_saveexec_b32 s33, s36
	s_cbranch_execz .LBB11_12
; %bb.11:                               ;   in Loop: Header=BB11_10 Depth=3
	v_ashrrev_i32_e32 v17, 31, v16
	s_delay_alu instid0(VALU_DEP_1) | instskip(NEXT) | instid1(VALU_DEP_1)
	v_mul_u64_e32 v[14:15], s[18:19], v[16:17]
	v_lshl_add_u64 v[14:15], v[14:15], 3, v[4:5]
	global_load_b64 v[14:15], v[14:15], off
.LBB11_12:                              ;   in Loop: Header=BB11_10 Depth=3
	s_wait_xcnt 0x0
	s_or_b32 exec_lo, exec_lo, s33
	v_add_nc_u32_e32 v9, s29, v21
	s_mov_b32 s33, exec_lo
	s_wait_loadcnt 0x0
	ds_store_b64 v24, v[14:15]
	v_dual_cndmask_b32 v16, v8, v9, s2 :: v_dual_cndmask_b32 v17, v9, v8, s2
	s_delay_alu instid0(VALU_DEP_1) | instskip(SKIP_1) | instid1(VALU_DEP_1)
	v_cmp_gt_i32_e32 vcc_lo, v16, v17
	v_dual_cndmask_b32 v16, v9, v8, vcc_lo :: v_dual_cndmask_b32 v18, v8, v9, vcc_lo
	v_max_i32_e32 v9, v16, v18
	s_delay_alu instid0(VALU_DEP_1)
	v_cmpx_gt_i32_e64 s30, v9
	s_cbranch_execz .LBB11_14
; %bb.13:                               ;   in Loop: Header=BB11_10 Depth=3
	v_dual_ashrrev_i32 v19, 31, v18 :: v_dual_ashrrev_i32 v17, 31, v16
	s_delay_alu instid0(VALU_DEP_1) | instskip(NEXT) | instid1(VALU_DEP_1)
	v_mul_u64_e32 v[12:13], s[10:11], v[18:19]
	v_lshl_add_u64 v[12:13], v[12:13], 3, s[14:15]
	s_delay_alu instid0(VALU_DEP_1)
	v_lshl_add_u64 v[12:13], v[16:17], 3, v[12:13]
	global_load_b64 v[12:13], v[12:13], off
.LBB11_14:                              ;   in Loop: Header=BB11_10 Depth=3
	s_wait_xcnt 0x0
	s_or_b32 exec_lo, exec_lo, s33
	s_wait_loadcnt 0x0
	ds_store_b64 v25, v[12:13]
	s_wait_dscnt 0x0
	s_barrier_signal -1
	s_barrier_wait -1
	s_and_saveexec_b32 s33, s28
	s_cbranch_execz .LBB11_9
; %bb.15:                               ;   in Loop: Header=BB11_10 Depth=3
	ds_load_2addr_b64 v[12:15], v23 offset1:32
	ds_load_b128 v[16:19], v22
	ds_load_b128 v[30:33], v22 offset:16
	s_wait_dscnt 0x1
	v_fma_f64 v[12:13], v[16:17], v[12:13], 0
	s_delay_alu instid0(VALU_DEP_1) | instskip(SKIP_3) | instid1(VALU_DEP_1)
	v_fmac_f64_e32 v[12:13], v[18:19], v[14:15]
	ds_load_2addr_b64 v[14:17], v23 offset0:64 offset1:96
	s_wait_dscnt 0x0
	v_fmac_f64_e32 v[12:13], v[30:31], v[14:15]
	v_fmac_f64_e32 v[12:13], v[32:33], v[16:17]
	ds_load_2addr_b64 v[14:17], v23 offset0:128 offset1:160
	ds_load_b128 v[30:33], v22 offset:32
	ds_load_b128 v[34:37], v22 offset:48
	s_wait_dscnt 0x1
	v_fmac_f64_e32 v[12:13], v[30:31], v[14:15]
	s_delay_alu instid0(VALU_DEP_1) | instskip(SKIP_3) | instid1(VALU_DEP_1)
	v_fmac_f64_e32 v[12:13], v[32:33], v[16:17]
	ds_load_2addr_b64 v[14:17], v23 offset0:192 offset1:224
	s_wait_dscnt 0x0
	v_fmac_f64_e32 v[12:13], v[34:35], v[14:15]
	v_fmac_f64_e32 v[12:13], v[36:37], v[16:17]
	ds_load_2addr_b64 v[14:17], v26 offset1:32
	ds_load_b128 v[30:33], v22 offset:64
	ds_load_b128 v[34:37], v22 offset:80
	s_wait_dscnt 0x1
	v_fmac_f64_e32 v[12:13], v[30:31], v[14:15]
	s_delay_alu instid0(VALU_DEP_1) | instskip(SKIP_3) | instid1(VALU_DEP_1)
	v_fmac_f64_e32 v[12:13], v[32:33], v[16:17]
	ds_load_2addr_b64 v[14:17], v26 offset0:64 offset1:96
	s_wait_dscnt 0x0
	v_fmac_f64_e32 v[12:13], v[34:35], v[14:15]
	v_fmac_f64_e32 v[12:13], v[36:37], v[16:17]
	ds_load_2addr_b64 v[14:17], v26 offset0:128 offset1:160
	ds_load_b128 v[30:33], v22 offset:96
	ds_load_b128 v[34:37], v22 offset:112
	s_wait_dscnt 0x1
	v_fmac_f64_e32 v[12:13], v[30:31], v[14:15]
	s_delay_alu instid0(VALU_DEP_1) | instskip(SKIP_3) | instid1(VALU_DEP_1)
	v_fmac_f64_e32 v[12:13], v[32:33], v[16:17]
	ds_load_2addr_b64 v[14:17], v26 offset0:192 offset1:224
	s_wait_dscnt 0x0
	v_fmac_f64_e32 v[12:13], v[34:35], v[14:15]
	v_fmac_f64_e32 v[12:13], v[36:37], v[16:17]
	ds_load_2addr_b64 v[14:17], v27 offset1:32
	ds_load_b128 v[30:33], v22 offset:128
	ds_load_b128 v[34:37], v22 offset:144
	s_wait_dscnt 0x1
	v_fmac_f64_e32 v[12:13], v[30:31], v[14:15]
	s_delay_alu instid0(VALU_DEP_1) | instskip(SKIP_3) | instid1(VALU_DEP_1)
	v_fmac_f64_e32 v[12:13], v[32:33], v[16:17]
	ds_load_2addr_b64 v[14:17], v27 offset0:64 offset1:96
	s_wait_dscnt 0x0
	v_fmac_f64_e32 v[12:13], v[34:35], v[14:15]
	v_fmac_f64_e32 v[12:13], v[36:37], v[16:17]
	ds_load_2addr_b64 v[14:17], v27 offset0:128 offset1:160
	ds_load_b128 v[30:33], v22 offset:160
	ds_load_b128 v[34:37], v22 offset:176
	global_load_b64 v[18:19], v[10:11], off
	s_wait_dscnt 0x1
	v_fmac_f64_e32 v[12:13], v[30:31], v[14:15]
	s_delay_alu instid0(VALU_DEP_1) | instskip(SKIP_3) | instid1(VALU_DEP_1)
	v_fmac_f64_e32 v[12:13], v[32:33], v[16:17]
	ds_load_2addr_b64 v[14:17], v27 offset0:192 offset1:224
	s_wait_dscnt 0x0
	v_fmac_f64_e32 v[12:13], v[34:35], v[14:15]
	v_fmac_f64_e32 v[12:13], v[36:37], v[16:17]
	ds_load_2addr_b64 v[14:17], v28 offset1:32
	ds_load_b128 v[30:33], v22 offset:192
	ds_load_b128 v[34:37], v22 offset:208
	s_wait_dscnt 0x1
	v_fmac_f64_e32 v[12:13], v[30:31], v[14:15]
	s_delay_alu instid0(VALU_DEP_1) | instskip(SKIP_3) | instid1(VALU_DEP_1)
	v_fmac_f64_e32 v[12:13], v[32:33], v[16:17]
	ds_load_2addr_b64 v[14:17], v28 offset0:64 offset1:96
	s_wait_dscnt 0x0
	v_fmac_f64_e32 v[12:13], v[34:35], v[14:15]
	v_fmac_f64_e32 v[12:13], v[36:37], v[16:17]
	ds_load_2addr_b64 v[14:17], v28 offset0:128 offset1:160
	ds_load_b128 v[30:33], v22 offset:224
	ds_load_b128 v[34:37], v22 offset:240
	s_wait_dscnt 0x1
	v_fmac_f64_e32 v[12:13], v[30:31], v[14:15]
	s_delay_alu instid0(VALU_DEP_1) | instskip(SKIP_3) | instid1(VALU_DEP_1)
	v_fmac_f64_e32 v[12:13], v[32:33], v[16:17]
	ds_load_2addr_b64 v[14:17], v28 offset0:192 offset1:224
	s_wait_dscnt 0x0
	v_fmac_f64_e32 v[12:13], v[34:35], v[14:15]
	v_fmac_f64_e32 v[12:13], v[36:37], v[16:17]
	s_wait_loadcnt 0x0
	s_delay_alu instid0(VALU_DEP_1)
	v_fmac_f64_e32 v[18:19], s[4:5], v[12:13]
	global_store_b64 v[10:11], v[18:19], off
	s_branch .LBB11_9
.LBB11_16:
	s_endpgm
	.section	.rodata,"a",@progbits
	.p2align	6, 0x0
	.amdhsa_kernel _ZL24rocblas_symm_hemm_kernelILb0ELb1ELi32EdPKdPdEvbiiT2_T3_lllS4_lllT4_llli
		.amdhsa_group_segment_fixed_size 16384
		.amdhsa_private_segment_fixed_size 0
		.amdhsa_kernarg_size 384
		.amdhsa_user_sgpr_count 2
		.amdhsa_user_sgpr_dispatch_ptr 0
		.amdhsa_user_sgpr_queue_ptr 0
		.amdhsa_user_sgpr_kernarg_segment_ptr 1
		.amdhsa_user_sgpr_dispatch_id 0
		.amdhsa_user_sgpr_kernarg_preload_length 0
		.amdhsa_user_sgpr_kernarg_preload_offset 0
		.amdhsa_user_sgpr_private_segment_size 0
		.amdhsa_wavefront_size32 1
		.amdhsa_uses_dynamic_stack 0
		.amdhsa_enable_private_segment 0
		.amdhsa_system_sgpr_workgroup_id_x 1
		.amdhsa_system_sgpr_workgroup_id_y 1
		.amdhsa_system_sgpr_workgroup_id_z 1
		.amdhsa_system_sgpr_workgroup_info 0
		.amdhsa_system_vgpr_workitem_id 1
		.amdhsa_next_free_vgpr 38
		.amdhsa_next_free_sgpr 41
		.amdhsa_named_barrier_count 0
		.amdhsa_reserve_vcc 1
		.amdhsa_float_round_mode_32 0
		.amdhsa_float_round_mode_16_64 0
		.amdhsa_float_denorm_mode_32 3
		.amdhsa_float_denorm_mode_16_64 3
		.amdhsa_fp16_overflow 0
		.amdhsa_memory_ordered 1
		.amdhsa_forward_progress 1
		.amdhsa_inst_pref_size 11
		.amdhsa_round_robin_scheduling 0
		.amdhsa_exception_fp_ieee_invalid_op 0
		.amdhsa_exception_fp_denorm_src 0
		.amdhsa_exception_fp_ieee_div_zero 0
		.amdhsa_exception_fp_ieee_overflow 0
		.amdhsa_exception_fp_ieee_underflow 0
		.amdhsa_exception_fp_ieee_inexact 0
		.amdhsa_exception_int_div_zero 0
	.end_amdhsa_kernel
	.section	.text._ZL24rocblas_symm_hemm_kernelILb0ELb1ELi32EdPKdPdEvbiiT2_T3_lllS4_lllT4_llli,"axG",@progbits,_ZL24rocblas_symm_hemm_kernelILb0ELb1ELi32EdPKdPdEvbiiT2_T3_lllS4_lllT4_llli,comdat
.Lfunc_end11:
	.size	_ZL24rocblas_symm_hemm_kernelILb0ELb1ELi32EdPKdPdEvbiiT2_T3_lllS4_lllT4_llli, .Lfunc_end11-_ZL24rocblas_symm_hemm_kernelILb0ELb1ELi32EdPKdPdEvbiiT2_T3_lllS4_lllT4_llli
                                        ; -- End function
	.set _ZL24rocblas_symm_hemm_kernelILb0ELb1ELi32EdPKdPdEvbiiT2_T3_lllS4_lllT4_llli.num_vgpr, 38
	.set _ZL24rocblas_symm_hemm_kernelILb0ELb1ELi32EdPKdPdEvbiiT2_T3_lllS4_lllT4_llli.num_agpr, 0
	.set _ZL24rocblas_symm_hemm_kernelILb0ELb1ELi32EdPKdPdEvbiiT2_T3_lllS4_lllT4_llli.numbered_sgpr, 41
	.set _ZL24rocblas_symm_hemm_kernelILb0ELb1ELi32EdPKdPdEvbiiT2_T3_lllS4_lllT4_llli.num_named_barrier, 0
	.set _ZL24rocblas_symm_hemm_kernelILb0ELb1ELi32EdPKdPdEvbiiT2_T3_lllS4_lllT4_llli.private_seg_size, 0
	.set _ZL24rocblas_symm_hemm_kernelILb0ELb1ELi32EdPKdPdEvbiiT2_T3_lllS4_lllT4_llli.uses_vcc, 1
	.set _ZL24rocblas_symm_hemm_kernelILb0ELb1ELi32EdPKdPdEvbiiT2_T3_lllS4_lllT4_llli.uses_flat_scratch, 0
	.set _ZL24rocblas_symm_hemm_kernelILb0ELb1ELi32EdPKdPdEvbiiT2_T3_lllS4_lllT4_llli.has_dyn_sized_stack, 0
	.set _ZL24rocblas_symm_hemm_kernelILb0ELb1ELi32EdPKdPdEvbiiT2_T3_lllS4_lllT4_llli.has_recursion, 0
	.set _ZL24rocblas_symm_hemm_kernelILb0ELb1ELi32EdPKdPdEvbiiT2_T3_lllS4_lllT4_llli.has_indirect_call, 0
	.section	.AMDGPU.csdata,"",@progbits
; Kernel info:
; codeLenInByte = 1352
; TotalNumSgprs: 43
; NumVgprs: 38
; ScratchSize: 0
; MemoryBound: 0
; FloatMode: 240
; IeeeMode: 1
; LDSByteSize: 16384 bytes/workgroup (compile time only)
; SGPRBlocks: 0
; VGPRBlocks: 2
; NumSGPRsForWavesPerEU: 43
; NumVGPRsForWavesPerEU: 38
; NamedBarCnt: 0
; Occupancy: 16
; WaveLimiterHint : 1
; COMPUTE_PGM_RSRC2:SCRATCH_EN: 0
; COMPUTE_PGM_RSRC2:USER_SGPR: 2
; COMPUTE_PGM_RSRC2:TRAP_HANDLER: 0
; COMPUTE_PGM_RSRC2:TGID_X_EN: 1
; COMPUTE_PGM_RSRC2:TGID_Y_EN: 1
; COMPUTE_PGM_RSRC2:TGID_Z_EN: 1
; COMPUTE_PGM_RSRC2:TIDIG_COMP_CNT: 1
	.section	.text._ZL25rocblas_symm_scale_kernelILi128ELi8EPK19rocblas_complex_numIfEPS1_EviiT1_T2_llli,"axG",@progbits,_ZL25rocblas_symm_scale_kernelILi128ELi8EPK19rocblas_complex_numIfEPS1_EviiT1_T2_llli,comdat
	.globl	_ZL25rocblas_symm_scale_kernelILi128ELi8EPK19rocblas_complex_numIfEPS1_EviiT1_T2_llli ; -- Begin function _ZL25rocblas_symm_scale_kernelILi128ELi8EPK19rocblas_complex_numIfEPS1_EviiT1_T2_llli
	.p2align	8
	.type	_ZL25rocblas_symm_scale_kernelILi128ELi8EPK19rocblas_complex_numIfEPS1_EviiT1_T2_llli,@function
_ZL25rocblas_symm_scale_kernelILi128ELi8EPK19rocblas_complex_numIfEPS1_EviiT1_T2_llli: ; @_ZL25rocblas_symm_scale_kernelILi128ELi8EPK19rocblas_complex_numIfEPS1_EviiT1_T2_llli
; %bb.0:
	s_load_b256 s[4:11], s[0:1], 0x8
	s_wait_kmcnt 0x0
	s_load_b64 s[12:13], s[4:5], 0x0
	s_wait_kmcnt 0x0
	s_cmp_eq_f32 s13, 0
	s_cselect_b32 s2, -1, 0
	s_cmp_eq_f32 s12, 1.0
	s_cselect_b32 s3, -1, 0
	s_delay_alu instid0(SALU_CYCLE_1) | instskip(NEXT) | instid1(SALU_CYCLE_1)
	s_and_b32 s2, s3, s2
	s_and_b32 vcc_lo, exec_lo, s2
	s_cbranch_vccnz .LBB12_9
; %bb.1:
	s_load_b32 s16, s[0:1], 0x30
	s_bfe_u32 s2, ttmp6, 0x40014
	s_lshr_b32 s3, ttmp7, 16
	s_add_co_i32 s2, s2, 1
	s_bfe_u32 s5, ttmp6, 0x40008
	s_mul_i32 s4, s3, s2
	s_getreg_b32 s2, hwreg(HW_REG_IB_STS2, 6, 4)
	s_add_co_i32 s5, s5, s4
	s_cmp_eq_u32 s2, 0
	s_cselect_b32 s17, s3, s5
	s_wait_kmcnt 0x0
	s_cmp_ge_u32 s17, s16
	s_cbranch_scc1 .LBB12_9
; %bb.2:
	s_bfe_u32 s3, ttmp6, 0x40010
	s_bfe_u32 s5, ttmp6, 0x4000c
	s_and_b32 s4, ttmp7, 0xffff
	s_add_co_i32 s3, s3, 1
	s_add_co_i32 s5, s5, 1
	s_mul_i32 s3, s4, s3
	s_bfe_u32 s14, ttmp6, 0x40004
	s_and_b32 s15, ttmp6, 15
	s_mul_i32 s5, ttmp9, s5
	s_add_co_i32 s14, s14, s3
	s_add_co_i32 s15, s15, s5
	v_bfe_u32 v1, v0, 10, 10
	s_cmp_eq_u32 s2, 0
	v_mov_b32_e32 v3, 0
	s_cselect_b32 s2, s4, s14
	v_and_b32_e32 v0, 0x3ff, v0
	v_lshl_add_u32 v2, s2, 3, v1
	s_load_b64 s[2:3], s[0:1], 0x0
	s_cselect_b32 s4, ttmp9, s15
	s_load_b64 s[14:15], s[0:1], 0x28
	v_lshl_add_u32 v0, s4, 7, v0
	v_mul_u64_e32 v[4:5], s[10:11], v[2:3]
	v_mov_b32_e32 v1, v3
	s_wait_xcnt 0x0
	s_add_nc_u64 s[0:1], s[0:1], 56
	s_wait_kmcnt 0x0
	s_ashr_i32 s5, s3, 31
	s_mov_b32 s4, s3
	v_cmp_gt_u32_e64 s2, s2, v0
	v_cmp_gt_i64_e32 vcc_lo, s[4:5], v[2:3]
	s_or_b32 s3, s12, s13
	s_delay_alu instid0(SALU_CYCLE_1)
	s_bitset0_b32 s3, 31
	s_and_b32 s18, s2, vcc_lo
	s_cmp_lg_u32 s3, 0
	s_cselect_b32 s19, -1, 0
	s_lshl_b64 s[2:3], s[8:9], 3
	s_mov_b32 s8, s12
	v_lshl_add_u64 v[4:5], v[4:5], 3, s[2:3]
	s_mov_b32 s3, 0
	s_mov_b32 s9, s12
	;; [unrolled: 1-line block ×3, first 2 shown]
	s_lshl_b64 s[10:11], s[10:11], 3
	v_lshl_add_u64 v[0:1], v[0:1], 3, v[4:5]
	s_delay_alu instid0(VALU_DEP_1)
	v_add_nc_u64_e32 v[0:1], s[6:7], v[0:1]
	s_lshl_b64 s[6:7], s[14:15], 3
	s_branch .LBB12_4
.LBB12_3:                               ;   in Loop: Header=BB12_4 Depth=1
	s_or_b32 exec_lo, exec_lo, s20
	s_add_co_i32 s17, s17, 0x10000
	s_delay_alu instid0(SALU_CYCLE_1)
	s_cmp_lt_u32 s17, s16
	s_cbranch_scc0 .LBB12_9
.LBB12_4:                               ; =>This Loop Header: Depth=1
                                        ;     Child Loop BB12_7 Depth 2
	s_and_saveexec_b32 s20, s18
	s_cbranch_execz .LBB12_3
; %bb.5:                                ;   in Loop: Header=BB12_4 Depth=1
	s_load_b32 s2, s[0:1], 0x4
	s_delay_alu instid0(VALU_DEP_1) | instskip(SKIP_2) | instid1(VALU_DEP_2)
	v_mad_nc_u64_u32 v[4:5], s6, s17, v[0:1]
	v_mov_b64_e32 v[6:7], v[2:3]
	s_mov_b32 s21, 0
	v_mad_u32 v5, s7, s17, v5
	s_wait_kmcnt 0x0
	s_lshl_b32 s2, s2, 3
	s_delay_alu instid0(SALU_CYCLE_1)
	s_mul_u64 s[14:15], s[10:11], s[2:3]
	s_branch .LBB12_7
.LBB12_6:                               ;   in Loop: Header=BB12_7 Depth=2
	v_add_nc_u64_e32 v[6:7], s[2:3], v[6:7]
	global_store_b64 v[4:5], v[8:9], off
	s_wait_xcnt 0x0
	v_add_nc_u64_e32 v[4:5], s[14:15], v[4:5]
	v_cmp_le_i64_e32 vcc_lo, s[4:5], v[6:7]
	s_or_b32 s21, vcc_lo, s21
	s_delay_alu instid0(SALU_CYCLE_1)
	s_and_not1_b32 exec_lo, exec_lo, s21
	s_cbranch_execz .LBB12_3
.LBB12_7:                               ;   Parent Loop BB12_4 Depth=1
                                        ; =>  This Inner Loop Header: Depth=2
	v_dual_mov_b32 v8, 0 :: v_dual_mov_b32 v9, 0
	s_and_not1_b32 vcc_lo, exec_lo, s19
	s_cbranch_vccnz .LBB12_6
; %bb.8:                                ;   in Loop: Header=BB12_7 Depth=2
	global_load_b64 v[8:9], v[4:5], off
	v_mov_b64_e32 v[10:11], s[12:13]
	v_mov_b64_e32 v[12:13], s[8:9]
	s_wait_loadcnt 0x0
	s_delay_alu instid0(VALU_DEP_2) | instskip(NEXT) | instid1(VALU_DEP_1)
	v_pk_mul_f32 v[10:11], v[8:9], v[10:11] op_sel:[1,0] op_sel_hi:[0,1]
	v_pk_fma_f32 v[14:15], v[8:9], v[12:13], v[10:11]
	v_pk_fma_f32 v[8:9], v[8:9], v[12:13], v[10:11] neg_lo:[0,0,1] neg_hi:[0,0,1]
	s_delay_alu instid0(VALU_DEP_2)
	v_mov_b32_e32 v9, v15
	s_branch .LBB12_6
.LBB12_9:
	s_endpgm
	.section	.rodata,"a",@progbits
	.p2align	6, 0x0
	.amdhsa_kernel _ZL25rocblas_symm_scale_kernelILi128ELi8EPK19rocblas_complex_numIfEPS1_EviiT1_T2_llli
		.amdhsa_group_segment_fixed_size 0
		.amdhsa_private_segment_fixed_size 0
		.amdhsa_kernarg_size 312
		.amdhsa_user_sgpr_count 2
		.amdhsa_user_sgpr_dispatch_ptr 0
		.amdhsa_user_sgpr_queue_ptr 0
		.amdhsa_user_sgpr_kernarg_segment_ptr 1
		.amdhsa_user_sgpr_dispatch_id 0
		.amdhsa_user_sgpr_kernarg_preload_length 0
		.amdhsa_user_sgpr_kernarg_preload_offset 0
		.amdhsa_user_sgpr_private_segment_size 0
		.amdhsa_wavefront_size32 1
		.amdhsa_uses_dynamic_stack 0
		.amdhsa_enable_private_segment 0
		.amdhsa_system_sgpr_workgroup_id_x 1
		.amdhsa_system_sgpr_workgroup_id_y 1
		.amdhsa_system_sgpr_workgroup_id_z 1
		.amdhsa_system_sgpr_workgroup_info 0
		.amdhsa_system_vgpr_workitem_id 1
		.amdhsa_next_free_vgpr 16
		.amdhsa_next_free_sgpr 22
		.amdhsa_named_barrier_count 0
		.amdhsa_reserve_vcc 1
		.amdhsa_float_round_mode_32 0
		.amdhsa_float_round_mode_16_64 0
		.amdhsa_float_denorm_mode_32 3
		.amdhsa_float_denorm_mode_16_64 3
		.amdhsa_fp16_overflow 0
		.amdhsa_memory_ordered 1
		.amdhsa_forward_progress 1
		.amdhsa_inst_pref_size 5
		.amdhsa_round_robin_scheduling 0
		.amdhsa_exception_fp_ieee_invalid_op 0
		.amdhsa_exception_fp_denorm_src 0
		.amdhsa_exception_fp_ieee_div_zero 0
		.amdhsa_exception_fp_ieee_overflow 0
		.amdhsa_exception_fp_ieee_underflow 0
		.amdhsa_exception_fp_ieee_inexact 0
		.amdhsa_exception_int_div_zero 0
	.end_amdhsa_kernel
	.section	.text._ZL25rocblas_symm_scale_kernelILi128ELi8EPK19rocblas_complex_numIfEPS1_EviiT1_T2_llli,"axG",@progbits,_ZL25rocblas_symm_scale_kernelILi128ELi8EPK19rocblas_complex_numIfEPS1_EviiT1_T2_llli,comdat
.Lfunc_end12:
	.size	_ZL25rocblas_symm_scale_kernelILi128ELi8EPK19rocblas_complex_numIfEPS1_EviiT1_T2_llli, .Lfunc_end12-_ZL25rocblas_symm_scale_kernelILi128ELi8EPK19rocblas_complex_numIfEPS1_EviiT1_T2_llli
                                        ; -- End function
	.set _ZL25rocblas_symm_scale_kernelILi128ELi8EPK19rocblas_complex_numIfEPS1_EviiT1_T2_llli.num_vgpr, 16
	.set _ZL25rocblas_symm_scale_kernelILi128ELi8EPK19rocblas_complex_numIfEPS1_EviiT1_T2_llli.num_agpr, 0
	.set _ZL25rocblas_symm_scale_kernelILi128ELi8EPK19rocblas_complex_numIfEPS1_EviiT1_T2_llli.numbered_sgpr, 22
	.set _ZL25rocblas_symm_scale_kernelILi128ELi8EPK19rocblas_complex_numIfEPS1_EviiT1_T2_llli.num_named_barrier, 0
	.set _ZL25rocblas_symm_scale_kernelILi128ELi8EPK19rocblas_complex_numIfEPS1_EviiT1_T2_llli.private_seg_size, 0
	.set _ZL25rocblas_symm_scale_kernelILi128ELi8EPK19rocblas_complex_numIfEPS1_EviiT1_T2_llli.uses_vcc, 1
	.set _ZL25rocblas_symm_scale_kernelILi128ELi8EPK19rocblas_complex_numIfEPS1_EviiT1_T2_llli.uses_flat_scratch, 0
	.set _ZL25rocblas_symm_scale_kernelILi128ELi8EPK19rocblas_complex_numIfEPS1_EviiT1_T2_llli.has_dyn_sized_stack, 0
	.set _ZL25rocblas_symm_scale_kernelILi128ELi8EPK19rocblas_complex_numIfEPS1_EviiT1_T2_llli.has_recursion, 0
	.set _ZL25rocblas_symm_scale_kernelILi128ELi8EPK19rocblas_complex_numIfEPS1_EviiT1_T2_llli.has_indirect_call, 0
	.section	.AMDGPU.csdata,"",@progbits
; Kernel info:
; codeLenInByte = 580
; TotalNumSgprs: 24
; NumVgprs: 16
; ScratchSize: 0
; MemoryBound: 0
; FloatMode: 240
; IeeeMode: 1
; LDSByteSize: 0 bytes/workgroup (compile time only)
; SGPRBlocks: 0
; VGPRBlocks: 0
; NumSGPRsForWavesPerEU: 24
; NumVGPRsForWavesPerEU: 16
; NamedBarCnt: 0
; Occupancy: 16
; WaveLimiterHint : 0
; COMPUTE_PGM_RSRC2:SCRATCH_EN: 0
; COMPUTE_PGM_RSRC2:USER_SGPR: 2
; COMPUTE_PGM_RSRC2:TRAP_HANDLER: 0
; COMPUTE_PGM_RSRC2:TGID_X_EN: 1
; COMPUTE_PGM_RSRC2:TGID_Y_EN: 1
; COMPUTE_PGM_RSRC2:TGID_Z_EN: 1
; COMPUTE_PGM_RSRC2:TIDIG_COMP_CNT: 1
	.section	.text._ZL24rocblas_symm_hemm_kernelILb0ELb0ELi32EPK19rocblas_complex_numIfES3_PS1_EvbiiT2_T3_lllS6_lllT4_llli,"axG",@progbits,_ZL24rocblas_symm_hemm_kernelILb0ELb0ELi32EPK19rocblas_complex_numIfES3_PS1_EvbiiT2_T3_lllS6_lllT4_llli,comdat
	.globl	_ZL24rocblas_symm_hemm_kernelILb0ELb0ELi32EPK19rocblas_complex_numIfES3_PS1_EvbiiT2_T3_lllS6_lllT4_llli ; -- Begin function _ZL24rocblas_symm_hemm_kernelILb0ELb0ELi32EPK19rocblas_complex_numIfES3_PS1_EvbiiT2_T3_lllS6_lllT4_llli
	.p2align	8
	.type	_ZL24rocblas_symm_hemm_kernelILb0ELb0ELi32EPK19rocblas_complex_numIfES3_PS1_EvbiiT2_T3_lllS6_lllT4_llli,@function
_ZL24rocblas_symm_hemm_kernelILb0ELb0ELi32EPK19rocblas_complex_numIfES3_PS1_EvbiiT2_T3_lllS6_lllT4_llli: ; @_ZL24rocblas_symm_hemm_kernelILb0ELb0ELi32EPK19rocblas_complex_numIfES3_PS1_EvbiiT2_T3_lllS6_lllT4_llli
; %bb.0:
	s_load_b512 s[4:19], s[0:1], 0x10
	s_wait_kmcnt 0x0
	s_load_b64 s[34:35], s[4:5], 0x0
	s_wait_kmcnt 0x0
	s_cmp_eq_f32 s34, 0
	s_cselect_b32 s2, -1, 0
	s_cmp_eq_f32 s35, 0
	s_cselect_b32 s3, -1, 0
	s_delay_alu instid0(SALU_CYCLE_1) | instskip(NEXT) | instid1(SALU_CYCLE_1)
	s_and_b32 s2, s2, s3
	s_and_b32 vcc_lo, exec_lo, s2
	s_cbranch_vccnz .LBB13_16
; %bb.1:
	s_load_b32 s31, s[0:1], 0x78
	s_bfe_u32 s2, ttmp6, 0x40014
	s_lshr_b32 s4, ttmp7, 16
	s_add_co_i32 s2, s2, 1
	s_bfe_u32 s5, ttmp6, 0x40008
	s_mul_i32 s2, s4, s2
	s_getreg_b32 s3, hwreg(HW_REG_IB_STS2, 6, 4)
	s_add_co_i32 s5, s5, s2
	s_cmp_eq_u32 s3, 0
	s_cselect_b32 s4, s4, s5
	s_wait_kmcnt 0x0
	s_cmp_ge_u32 s4, s31
	s_cbranch_scc1 .LBB13_16
; %bb.2:
	s_clause 0x1
	s_load_b96 s[28:30], s[0:1], 0x0
	s_load_b256 s[20:27], s[0:1], 0x50
	s_lshl_b64 s[36:37], s[8:9], 3
	s_lshl_b64 s[16:17], s[16:17], 3
	s_add_nc_u64 s[6:7], s[6:7], s[36:37]
	v_bfe_u32 v18, v0, 10, 10
	v_and_b32_e32 v19, 0x3ff, v0
	s_load_b64 s[8:9], s[0:1], 0x70
	s_add_nc_u64 s[14:15], s[14:15], s[16:17]
	s_mov_b32 s5, 0
	s_delay_alu instid0(VALU_DEP_1) | instskip(NEXT) | instid1(VALU_DEP_1)
	v_dual_lshlrev_b32 v0, 3, v18 :: v_dual_lshlrev_b32 v20, 8, v19
	v_or_b32_e32 v21, 0x2000, v0
	s_delay_alu instid0(VALU_DEP_2) | instskip(NEXT) | instid1(VALU_DEP_2)
	v_add_nc_u32_e32 v22, v20, v0
	v_add_nc_u32_e32 v23, v21, v20
	s_wait_kmcnt 0x0
	s_bitcmp1_b32 s28, 0
	v_add_nc_u32_e32 v24, 0x1000, v21
	s_cselect_b32 s2, -1, 0
	s_add_co_i32 s28, s30, -1
	s_bfe_u32 s36, ttmp6, 0x4000c
	s_bfe_u32 s38, ttmp6, 0x40010
	s_ashr_i32 s40, s28, 31
	s_and_b32 s37, ttmp7, 0xffff
	s_add_co_i32 s36, s36, 1
	s_add_co_i32 s38, s38, 1
	s_lshr_b32 s40, s40, 27
	s_and_b32 s33, ttmp6, 15
	s_bfe_u32 s39, ttmp6, 0x40004
	s_mul_i32 s36, ttmp9, s36
	s_mul_i32 s38, s37, s38
	s_add_co_i32 s28, s28, s40
	s_lshl_b64 s[24:25], s[24:25], 3
	s_add_co_i32 s33, s33, s36
	s_add_co_i32 s39, s39, s38
	s_ashr_i32 s28, s28, 5
	s_cmp_eq_u32 s3, 0
	s_add_nc_u64 s[16:17], s[22:23], s[24:25]
	s_cselect_b32 s3, ttmp9, s33
	s_cselect_b32 s33, s37, s39
	v_lshl_add_u32 v0, s3, 5, v19
	s_cmp_le_i32 s33, s28
	v_add_nc_u32_e32 v25, 0x1800, v21
	s_cselect_b32 s38, -1, 0
	s_cmp_gt_i32 s29, 0
	v_ashrrev_i32_e32 v1, 31, v0
	v_cmp_gt_i32_e64 s3, s29, v0
	s_cselect_b32 s39, -1, 0
	s_mov_b32 s22, s35
	s_mov_b32 s23, s34
	v_lshl_add_u64 v[2:3], v[0:1], 3, s[16:17]
	v_add_nc_u32_e32 v1, 0x800, v21
	s_add_nc_u64 s[16:17], s[0:1], 0x80
	s_branch .LBB13_4
.LBB13_3:                               ;   in Loop: Header=BB13_4 Depth=1
	s_add_co_i32 s4, s4, 0x10000
	s_delay_alu instid0(SALU_CYCLE_1)
	s_cmp_lt_u32 s4, s31
	s_cbranch_scc0 .LBB13_16
.LBB13_4:                               ; =>This Loop Header: Depth=1
                                        ;     Child Loop BB13_7 Depth 2
                                        ;       Child Loop BB13_10 Depth 3
	s_and_not1_b32 vcc_lo, exec_lo, s38
	s_cbranch_vccnz .LBB13_3
; %bb.5:                                ;   in Loop: Header=BB13_4 Depth=1
	s_load_b32 s1, s[16:17], 0x4
	s_mul_u64 s[40:41], s[8:9], s[4:5]
	s_mul_u64 s[24:25], s[12:13], s[4:5]
	;; [unrolled: 1-line block ×3, first 2 shown]
	v_lshl_add_u64 v[4:5], s[40:41], 3, v[2:3]
	s_lshl_b64 s[24:25], s[24:25], 3
	s_lshl_b64 s[36:37], s[36:37], 3
	s_add_nc_u64 s[24:25], s[6:7], s[24:25]
	s_add_nc_u64 s[36:37], s[14:15], s[36:37]
	s_mov_b32 s40, s33
	s_branch .LBB13_7
.LBB13_6:                               ;   in Loop: Header=BB13_7 Depth=2
	s_wait_kmcnt 0x0
	s_add_co_i32 s40, s40, s1
	s_delay_alu instid0(SALU_CYCLE_1)
	s_cmp_gt_i32 s40, s28
	s_cbranch_scc1 .LBB13_3
.LBB13_7:                               ;   Parent Loop BB13_4 Depth=1
                                        ; =>  This Loop Header: Depth=2
                                        ;       Child Loop BB13_10 Depth 3
	s_and_not1_b32 vcc_lo, exec_lo, s39
	s_cbranch_vccnz .LBB13_6
; %bb.8:                                ;   in Loop: Header=BB13_7 Depth=2
	v_lshl_add_u32 v6, s40, 5, v18
	s_mov_b32 s42, 0
	s_delay_alu instid0(VALU_DEP_1) | instskip(SKIP_1) | instid1(VALU_DEP_2)
	v_ashrrev_i32_e32 v7, 31, v6
	v_cmp_gt_i32_e32 vcc_lo, s30, v6
	v_mul_u64_e32 v[8:9], s[18:19], v[6:7]
	v_mul_u64_e32 v[10:11], s[26:27], v[6:7]
	s_and_b32 s41, s3, vcc_lo
	s_delay_alu instid0(VALU_DEP_2) | instskip(NEXT) | instid1(VALU_DEP_2)
	v_lshl_add_u64 v[6:7], v[8:9], 3, s[36:37]
	v_lshl_add_u64 v[8:9], v[10:11], 3, v[4:5]
	s_branch .LBB13_10
.LBB13_9:                               ;   in Loop: Header=BB13_10 Depth=3
	s_wait_xcnt 0x0
	s_or_b32 exec_lo, exec_lo, s0
	s_add_co_i32 s42, s42, 32
	s_wait_storecnt 0x0
	s_cmp_ge_i32 s42, s29
	s_barrier_signal -1
	s_barrier_wait -1
	s_cbranch_scc1 .LBB13_6
.LBB13_10:                              ;   Parent Loop BB13_4 Depth=1
                                        ;     Parent Loop BB13_7 Depth=2
                                        ; =>    This Inner Loop Header: Depth=3
	v_dual_mov_b32 v13, 0 :: v_dual_add_nc_u32 v10, s42, v18
	s_mov_b32 s43, exec_lo
	s_delay_alu instid0(VALU_DEP_1) | instskip(NEXT) | instid1(VALU_DEP_1)
	v_dual_cndmask_b32 v11, v10, v0, s2 :: v_dual_cndmask_b32 v12, v0, v10, s2
	v_cmp_gt_i32_e64 s0, v11, v12
	s_delay_alu instid0(VALU_DEP_1) | instskip(SKIP_1) | instid1(VALU_DEP_1)
	v_dual_mov_b32 v12, 0 :: v_dual_cndmask_b32 v14, v0, v10, s0
	v_dual_cndmask_b32 v16, v10, v0, s0 :: v_dual_mov_b32 v10, 0
	v_max_i32_e32 v11, v14, v16
	s_delay_alu instid0(VALU_DEP_1)
	v_cmpx_gt_i32_e64 s29, v11
	s_cbranch_execz .LBB13_12
; %bb.11:                               ;   in Loop: Header=BB13_10 Depth=3
	v_dual_ashrrev_i32 v17, 31, v16 :: v_dual_ashrrev_i32 v15, 31, v14
	s_delay_alu instid0(VALU_DEP_1) | instskip(NEXT) | instid1(VALU_DEP_1)
	v_mul_u64_e32 v[12:13], s[10:11], v[16:17]
	v_lshl_add_u64 v[12:13], v[12:13], 3, s[24:25]
	s_delay_alu instid0(VALU_DEP_1)
	v_lshl_add_u64 v[12:13], v[14:15], 3, v[12:13]
	global_load_b64 v[12:13], v[12:13], off
.LBB13_12:                              ;   in Loop: Header=BB13_10 Depth=3
	s_wait_xcnt 0x0
	s_or_b32 exec_lo, exec_lo, s43
	v_dual_mov_b32 v11, 0 :: v_dual_add_nc_u32 v14, s42, v19
	s_wait_loadcnt 0x0
	ds_store_b64 v22, v[12:13]
	v_cmp_gt_i32_e64 s0, s29, v14
	s_and_b32 s43, s0, vcc_lo
	s_delay_alu instid0(SALU_CYCLE_1)
	s_and_saveexec_b32 s0, s43
	s_cbranch_execz .LBB13_14
; %bb.13:                               ;   in Loop: Header=BB13_10 Depth=3
	v_ashrrev_i32_e32 v15, 31, v14
	s_delay_alu instid0(VALU_DEP_1)
	v_lshl_add_u64 v[10:11], v[14:15], 3, v[6:7]
	global_load_b64 v[10:11], v[10:11], off
.LBB13_14:                              ;   in Loop: Header=BB13_10 Depth=3
	s_wait_xcnt 0x0
	s_or_b32 exec_lo, exec_lo, s0
	s_wait_loadcnt 0x0
	ds_store_b64 v23, v[10:11]
	s_wait_dscnt 0x0
	s_barrier_signal -1
	s_barrier_wait -1
	s_and_saveexec_b32 s0, s41
	s_cbranch_execz .LBB13_9
; %bb.15:                               ;   in Loop: Header=BB13_10 Depth=3
	global_load_b64 v[10:11], v[8:9], off
	ds_load_2addr_b64 v[12:15], v21 offset1:32
	ds_load_b128 v[26:29], v20
	ds_load_b128 v[30:33], v20 offset:16
	ds_load_2addr_b64 v[34:37], v21 offset0:64 offset1:96
	ds_load_b128 v[38:41], v20 offset:32
	ds_load_2addr_b64 v[42:45], v21 offset0:128 offset1:160
	s_wait_dscnt 0x4
	v_dual_mul_f32 v16, v13, v27 :: v_dual_mul_f32 v17, v12, v27
	s_delay_alu instid0(VALU_DEP_1) | instskip(SKIP_2) | instid1(VALU_DEP_2)
	v_dual_fma_f32 v12, v12, v26, -v16 :: v_dual_fmac_f32 v17, v13, v26
	v_dual_mul_f32 v13, v15, v29 :: v_dual_mul_f32 v16, v14, v29
	s_wait_dscnt 0x2
	v_dual_mul_f32 v29, v35, v31 :: v_dual_add_f32 v26, 0, v12
	s_delay_alu instid0(VALU_DEP_2) | instskip(NEXT) | instid1(VALU_DEP_3)
	v_dual_add_f32 v17, 0, v17 :: v_dual_fma_f32 v27, v14, v28, -v13
	v_dual_fmac_f32 v16, v15, v28 :: v_dual_mul_f32 v31, v34, v31
	ds_load_b128 v[12:15], v20 offset:48
	v_dual_add_f32 v26, v26, v27 :: v_dual_add_f32 v16, v17, v16
	v_dual_fma_f32 v27, v34, v30, -v29 :: v_dual_fmac_f32 v31, v35, v30
	v_dual_mul_f32 v17, v37, v33 :: v_dual_mul_f32 v30, v36, v33
	s_delay_alu instid0(VALU_DEP_2) | instskip(SKIP_4) | instid1(VALU_DEP_2)
	v_add_f32_e32 v33, v26, v27
	ds_load_2addr_b64 v[26:29], v21 offset0:192 offset1:224
	v_dual_add_f32 v16, v16, v31 :: v_dual_fmac_f32 v30, v37, v32
	s_wait_dscnt 0x2
	v_dual_fma_f32 v17, v36, v32, -v17 :: v_dual_mul_f32 v31, v43, v39
	v_dual_mul_f32 v39, v42, v39 :: v_dual_add_f32 v16, v16, v30
	s_delay_alu instid0(VALU_DEP_2) | instskip(SKIP_4) | instid1(VALU_DEP_2)
	v_dual_add_f32 v17, v33, v17 :: v_dual_fma_f32 v42, v42, v38, -v31
	ds_load_b128 v[30:33], v20 offset:64
	ds_load_2addr_b64 v[34:37], v1 offset1:32
	v_dual_fmac_f32 v39, v43, v38 :: v_dual_mul_f32 v38, v45, v41
	v_dual_mul_f32 v41, v44, v41 :: v_dual_add_f32 v17, v17, v42
	v_add_f32_e32 v16, v16, v39
	s_delay_alu instid0(VALU_DEP_2) | instskip(SKIP_2) | instid1(VALU_DEP_2)
	v_dual_fma_f32 v38, v44, v40, -v38 :: v_dual_fmac_f32 v41, v45, v40
	s_wait_dscnt 0x2
	v_dual_mul_f32 v39, v27, v13 :: v_dual_mul_f32 v13, v26, v13
	v_dual_add_f32 v17, v17, v38 :: v_dual_add_f32 v16, v16, v41
	s_delay_alu instid0(VALU_DEP_2)
	v_dual_fma_f32 v26, v26, v12, -v39 :: v_dual_fmac_f32 v13, v27, v12
	v_dual_mul_f32 v12, v29, v15 :: v_dual_mul_f32 v15, v28, v15
	ds_load_b128 v[38:41], v20 offset:80
	ds_load_2addr_b64 v[42:45], v1 offset0:64 offset1:96
	s_wait_dscnt 0x2
	v_dual_add_f32 v17, v17, v26 :: v_dual_mul_f32 v26, v35, v31
	v_dual_fma_f32 v12, v28, v14, -v12 :: v_dual_fmac_f32 v15, v29, v14
	v_dual_add_f32 v13, v16, v13 :: v_dual_mul_f32 v16, v34, v31
	s_delay_alu instid0(VALU_DEP_2) | instskip(NEXT) | instid1(VALU_DEP_2)
	v_dual_fma_f32 v14, v34, v30, -v26 :: v_dual_add_f32 v12, v17, v12
	v_dual_add_f32 v17, v13, v15 :: v_dual_fmac_f32 v16, v35, v30
	s_delay_alu instid0(VALU_DEP_2)
	v_dual_mul_f32 v30, v37, v33 :: v_dual_add_f32 v31, v12, v14
	ds_load_b128 v[12:15], v20 offset:96
	ds_load_2addr_b64 v[26:29], v1 offset0:128 offset1:160
	v_dual_mul_f32 v33, v36, v33 :: v_dual_add_f32 v16, v17, v16
	s_wait_dscnt 0x2
	v_dual_fma_f32 v30, v36, v32, -v30 :: v_dual_mul_f32 v34, v43, v39
	s_delay_alu instid0(VALU_DEP_1) | instskip(NEXT) | instid1(VALU_DEP_2)
	v_dual_fmac_f32 v33, v37, v32 :: v_dual_add_f32 v17, v31, v30
	v_dual_mul_f32 v39, v42, v39 :: v_dual_fma_f32 v30, v42, v38, -v34
	v_mul_f32_e32 v31, v45, v41
	s_delay_alu instid0(VALU_DEP_2) | instskip(NEXT) | instid1(VALU_DEP_3)
	v_dual_add_f32 v16, v16, v33 :: v_dual_fmac_f32 v39, v43, v38
	v_dual_mul_f32 v41, v44, v41 :: v_dual_add_f32 v17, v17, v30
	s_delay_alu instid0(VALU_DEP_3)
	v_fma_f32 v38, v44, v40, -v31
	ds_load_b128 v[30:33], v20 offset:112
	ds_load_2addr_b64 v[34:37], v1 offset0:192 offset1:224
	s_wait_dscnt 0x2
	v_dual_add_f32 v16, v16, v39 :: v_dual_mul_f32 v42, v27, v13
	v_dual_fmac_f32 v41, v45, v40 :: v_dual_mul_f32 v13, v26, v13
	s_delay_alu instid0(VALU_DEP_2) | instskip(NEXT) | instid1(VALU_DEP_2)
	v_dual_add_f32 v17, v17, v38 :: v_dual_fma_f32 v26, v26, v12, -v42
	v_dual_add_f32 v16, v16, v41 :: v_dual_fmac_f32 v13, v27, v12
	ds_load_b128 v[38:41], v20 offset:128
	ds_load_2addr_b64 v[42:45], v24 offset1:32
	v_add_f32_e32 v12, v17, v26
	v_dual_mul_f32 v17, v29, v15 :: v_dual_add_f32 v13, v16, v13
	s_delay_alu instid0(VALU_DEP_1) | instskip(SKIP_1) | instid1(VALU_DEP_1)
	v_dual_mul_f32 v15, v28, v15 :: v_dual_fma_f32 v16, v28, v14, -v17
	s_wait_dscnt 0x2
	v_dual_fmac_f32 v15, v29, v14 :: v_dual_mul_f32 v14, v35, v31
	s_delay_alu instid0(VALU_DEP_2) | instskip(NEXT) | instid1(VALU_DEP_2)
	v_dual_mul_f32 v17, v34, v31 :: v_dual_add_f32 v16, v12, v16
	v_dual_add_f32 v31, v13, v15 :: v_dual_fma_f32 v34, v34, v30, -v14
	s_delay_alu instid0(VALU_DEP_2)
	v_dual_fmac_f32 v17, v35, v30 :: v_dual_mul_f32 v30, v37, v33
	v_mul_f32_e32 v33, v36, v33
	ds_load_b128 v[12:15], v20 offset:144
	ds_load_2addr_b64 v[26:29], v24 offset0:64 offset1:96
	v_dual_add_f32 v16, v16, v34 :: v_dual_add_f32 v17, v31, v17
	v_dual_fma_f32 v30, v36, v32, -v30 :: v_dual_fmac_f32 v33, v37, v32
	s_wait_dscnt 0x2
	v_dual_mul_f32 v31, v43, v39 :: v_dual_mul_f32 v39, v42, v39
	s_delay_alu instid0(VALU_DEP_2) | instskip(NEXT) | instid1(VALU_DEP_2)
	v_dual_add_f32 v16, v16, v30 :: v_dual_add_f32 v17, v17, v33
	v_fma_f32 v42, v42, v38, -v31
	ds_load_b128 v[30:33], v20 offset:160
	ds_load_2addr_b64 v[34:37], v24 offset0:128 offset1:160
	v_dual_fmac_f32 v39, v43, v38 :: v_dual_mul_f32 v38, v45, v41
	v_mul_f32_e32 v41, v44, v41
	s_delay_alu instid0(VALU_DEP_2) | instskip(NEXT) | instid1(VALU_DEP_2)
	v_dual_add_f32 v16, v16, v42 :: v_dual_add_f32 v17, v17, v39
	v_dual_fma_f32 v38, v44, v40, -v38 :: v_dual_fmac_f32 v41, v45, v40
	s_wait_dscnt 0x2
	v_dual_mul_f32 v42, v27, v13 :: v_dual_mul_f32 v13, v26, v13
	s_delay_alu instid0(VALU_DEP_2) | instskip(NEXT) | instid1(VALU_DEP_2)
	v_dual_add_f32 v16, v16, v38 :: v_dual_add_f32 v17, v17, v41
	v_dual_fma_f32 v26, v26, v12, -v42 :: v_dual_fmac_f32 v13, v27, v12
	v_mul_f32_e32 v12, v29, v15
	ds_load_b128 v[38:41], v20 offset:176
	ds_load_2addr_b64 v[42:45], v24 offset0:192 offset1:224
	v_add_f32_e32 v16, v16, v26
	v_dual_mul_f32 v15, v28, v15 :: v_dual_fma_f32 v12, v28, v14, -v12
	s_wait_dscnt 0x2
	v_dual_mul_f32 v26, v35, v31 :: v_dual_add_f32 v13, v17, v13
	s_delay_alu instid0(VALU_DEP_2) | instskip(NEXT) | instid1(VALU_DEP_2)
	v_dual_fmac_f32 v15, v29, v14 :: v_dual_add_f32 v12, v16, v12
	v_dual_mul_f32 v16, v34, v31 :: v_dual_fma_f32 v14, v34, v30, -v26
	v_mul_f32_e32 v17, v37, v33
	s_delay_alu instid0(VALU_DEP_3) | instskip(NEXT) | instid1(VALU_DEP_3)
	v_dual_add_f32 v31, v13, v15 :: v_dual_mul_f32 v33, v36, v33
	v_fmac_f32_e32 v16, v35, v30
	s_delay_alu instid0(VALU_DEP_4)
	v_add_f32_e32 v30, v12, v14
	ds_load_b128 v[12:15], v20 offset:192
	ds_load_2addr_b64 v[26:29], v25 offset1:32
	v_fma_f32 v17, v36, v32, -v17
	s_wait_dscnt 0x2
	v_dual_fmac_f32 v33, v37, v32 :: v_dual_mul_f32 v34, v43, v39
	v_dual_add_f32 v16, v31, v16 :: v_dual_mul_f32 v39, v42, v39
	s_delay_alu instid0(VALU_DEP_3) | instskip(NEXT) | instid1(VALU_DEP_2)
	v_add_f32_e32 v17, v30, v17
	v_dual_fma_f32 v30, v42, v38, -v34 :: v_dual_add_f32 v16, v16, v33
	s_delay_alu instid0(VALU_DEP_3) | instskip(NEXT) | instid1(VALU_DEP_2)
	v_dual_fmac_f32 v39, v43, v38 :: v_dual_mul_f32 v38, v45, v41
	v_dual_mul_f32 v41, v44, v41 :: v_dual_add_f32 v17, v17, v30
	ds_load_b128 v[30:33], v20 offset:208
	ds_load_2addr_b64 v[34:37], v25 offset0:64 offset1:96
	v_add_f32_e32 v16, v16, v39
	v_dual_fma_f32 v38, v44, v40, -v38 :: v_dual_fmac_f32 v41, v45, v40
	s_wait_dscnt 0x2
	v_dual_mul_f32 v39, v27, v13 :: v_dual_mul_f32 v13, v26, v13
	s_delay_alu instid0(VALU_DEP_2) | instskip(NEXT) | instid1(VALU_DEP_2)
	v_dual_add_f32 v17, v17, v38 :: v_dual_add_f32 v16, v16, v41
	v_dual_fma_f32 v26, v26, v12, -v39 :: v_dual_fmac_f32 v13, v27, v12
	v_dual_mul_f32 v12, v29, v15 :: v_dual_mul_f32 v15, v28, v15
	ds_load_b128 v[38:41], v20 offset:224
	ds_load_2addr_b64 v[42:45], v25 offset0:128 offset1:160
	v_dual_add_f32 v17, v17, v26 :: v_dual_add_f32 v13, v16, v13
	v_dual_fma_f32 v12, v28, v14, -v12 :: v_dual_fmac_f32 v15, v29, v14
	s_wait_dscnt 0x2
	v_dual_mul_f32 v16, v34, v31 :: v_dual_mul_f32 v31, v35, v31
	s_delay_alu instid0(VALU_DEP_2) | instskip(NEXT) | instid1(VALU_DEP_2)
	v_add_f32_e32 v17, v17, v12
	v_dual_add_f32 v46, v13, v15 :: v_dual_fmac_f32 v16, v35, v30
	ds_load_b128 v[12:15], v20 offset:240
	ds_load_2addr_b64 v[26:29], v25 offset0:192 offset1:224
	v_dual_mul_f32 v35, v36, v33 :: v_dual_fma_f32 v30, v34, v30, -v31
	v_dual_mul_f32 v31, v37, v33 :: v_dual_add_f32 v16, v46, v16
	s_delay_alu instid0(VALU_DEP_2) | instskip(NEXT) | instid1(VALU_DEP_2)
	v_fmac_f32_e32 v35, v37, v32
	v_dual_add_f32 v17, v17, v30 :: v_dual_fma_f32 v30, v36, v32, -v31
	s_wait_dscnt 0x2
	v_dual_mul_f32 v31, v43, v39 :: v_dual_mul_f32 v33, v42, v39
	s_delay_alu instid0(VALU_DEP_3) | instskip(NEXT) | instid1(VALU_DEP_3)
	v_add_f32_e32 v16, v16, v35
	v_dual_mul_f32 v32, v44, v41 :: v_dual_add_f32 v17, v17, v30
	s_delay_alu instid0(VALU_DEP_3) | instskip(NEXT) | instid1(VALU_DEP_2)
	v_dual_fmac_f32 v33, v43, v38 :: v_dual_fma_f32 v30, v42, v38, -v31
	v_dual_mul_f32 v31, v45, v41 :: v_dual_fmac_f32 v32, v45, v40
	s_delay_alu instid0(VALU_DEP_2) | instskip(SKIP_1) | instid1(VALU_DEP_3)
	v_add_f32_e32 v16, v16, v33
	s_wait_dscnt 0x0
	v_dual_mul_f32 v33, v26, v13 :: v_dual_add_f32 v17, v17, v30
	s_delay_alu instid0(VALU_DEP_3) | instskip(NEXT) | instid1(VALU_DEP_3)
	v_dual_fma_f32 v30, v44, v40, -v31 :: v_dual_mul_f32 v13, v27, v13
	v_add_f32_e32 v16, v16, v32
	s_delay_alu instid0(VALU_DEP_3) | instskip(NEXT) | instid1(VALU_DEP_3)
	v_dual_fmac_f32 v33, v27, v12 :: v_dual_mul_f32 v27, v28, v15
	v_dual_add_f32 v17, v17, v30 :: v_dual_fma_f32 v12, v26, v12, -v13
	s_delay_alu instid0(VALU_DEP_2) | instskip(NEXT) | instid1(VALU_DEP_3)
	v_dual_mul_f32 v15, v29, v15 :: v_dual_add_f32 v13, v16, v33
	v_fmac_f32_e32 v27, v29, v14
	s_delay_alu instid0(VALU_DEP_2) | instskip(SKIP_1) | instid1(VALU_DEP_2)
	v_dual_add_f32 v16, v17, v12 :: v_dual_fma_f32 v17, v28, v14, -v15
	v_mov_b64_e32 v[14:15], s[22:23]
	v_dual_add_f32 v12, v13, v27 :: v_dual_add_f32 v16, v16, v17
	s_delay_alu instid0(VALU_DEP_1) | instskip(SKIP_1) | instid1(VALU_DEP_1)
	v_pk_mul_f32 v[12:13], v[14:15], v[12:13] op_sel_hi:[1,0]
	v_mov_b64_e32 v[14:15], s[34:35]
	v_pk_fma_f32 v[26:27], v[14:15], v[16:17], v[12:13] op_sel_hi:[1,0,1]
	v_pk_fma_f32 v[12:13], v[14:15], v[16:17], v[12:13] neg_lo:[0,0,1] neg_hi:[0,0,1]
	s_delay_alu instid0(VALU_DEP_2) | instskip(SKIP_1) | instid1(VALU_DEP_1)
	v_mov_b32_e32 v13, v27
	s_wait_loadcnt 0x0
	v_pk_add_f32 v[10:11], v[10:11], v[12:13]
	global_store_b64 v[8:9], v[10:11], off
	s_branch .LBB13_9
.LBB13_16:
	s_endpgm
	.section	.rodata,"a",@progbits
	.p2align	6, 0x0
	.amdhsa_kernel _ZL24rocblas_symm_hemm_kernelILb0ELb0ELi32EPK19rocblas_complex_numIfES3_PS1_EvbiiT2_T3_lllS6_lllT4_llli
		.amdhsa_group_segment_fixed_size 16384
		.amdhsa_private_segment_fixed_size 0
		.amdhsa_kernarg_size 384
		.amdhsa_user_sgpr_count 2
		.amdhsa_user_sgpr_dispatch_ptr 0
		.amdhsa_user_sgpr_queue_ptr 0
		.amdhsa_user_sgpr_kernarg_segment_ptr 1
		.amdhsa_user_sgpr_dispatch_id 0
		.amdhsa_user_sgpr_kernarg_preload_length 0
		.amdhsa_user_sgpr_kernarg_preload_offset 0
		.amdhsa_user_sgpr_private_segment_size 0
		.amdhsa_wavefront_size32 1
		.amdhsa_uses_dynamic_stack 0
		.amdhsa_enable_private_segment 0
		.amdhsa_system_sgpr_workgroup_id_x 1
		.amdhsa_system_sgpr_workgroup_id_y 1
		.amdhsa_system_sgpr_workgroup_id_z 1
		.amdhsa_system_sgpr_workgroup_info 0
		.amdhsa_system_vgpr_workitem_id 1
		.amdhsa_next_free_vgpr 47
		.amdhsa_next_free_sgpr 44
		.amdhsa_named_barrier_count 0
		.amdhsa_reserve_vcc 1
		.amdhsa_float_round_mode_32 0
		.amdhsa_float_round_mode_16_64 0
		.amdhsa_float_denorm_mode_32 3
		.amdhsa_float_denorm_mode_16_64 3
		.amdhsa_fp16_overflow 0
		.amdhsa_memory_ordered 1
		.amdhsa_forward_progress 1
		.amdhsa_inst_pref_size 19
		.amdhsa_round_robin_scheduling 0
		.amdhsa_exception_fp_ieee_invalid_op 0
		.amdhsa_exception_fp_denorm_src 0
		.amdhsa_exception_fp_ieee_div_zero 0
		.amdhsa_exception_fp_ieee_overflow 0
		.amdhsa_exception_fp_ieee_underflow 0
		.amdhsa_exception_fp_ieee_inexact 0
		.amdhsa_exception_int_div_zero 0
	.end_amdhsa_kernel
	.section	.text._ZL24rocblas_symm_hemm_kernelILb0ELb0ELi32EPK19rocblas_complex_numIfES3_PS1_EvbiiT2_T3_lllS6_lllT4_llli,"axG",@progbits,_ZL24rocblas_symm_hemm_kernelILb0ELb0ELi32EPK19rocblas_complex_numIfES3_PS1_EvbiiT2_T3_lllS6_lllT4_llli,comdat
.Lfunc_end13:
	.size	_ZL24rocblas_symm_hemm_kernelILb0ELb0ELi32EPK19rocblas_complex_numIfES3_PS1_EvbiiT2_T3_lllS6_lllT4_llli, .Lfunc_end13-_ZL24rocblas_symm_hemm_kernelILb0ELb0ELi32EPK19rocblas_complex_numIfES3_PS1_EvbiiT2_T3_lllS6_lllT4_llli
                                        ; -- End function
	.set _ZL24rocblas_symm_hemm_kernelILb0ELb0ELi32EPK19rocblas_complex_numIfES3_PS1_EvbiiT2_T3_lllS6_lllT4_llli.num_vgpr, 47
	.set _ZL24rocblas_symm_hemm_kernelILb0ELb0ELi32EPK19rocblas_complex_numIfES3_PS1_EvbiiT2_T3_lllS6_lllT4_llli.num_agpr, 0
	.set _ZL24rocblas_symm_hemm_kernelILb0ELb0ELi32EPK19rocblas_complex_numIfES3_PS1_EvbiiT2_T3_lllS6_lllT4_llli.numbered_sgpr, 44
	.set _ZL24rocblas_symm_hemm_kernelILb0ELb0ELi32EPK19rocblas_complex_numIfES3_PS1_EvbiiT2_T3_lllS6_lllT4_llli.num_named_barrier, 0
	.set _ZL24rocblas_symm_hemm_kernelILb0ELb0ELi32EPK19rocblas_complex_numIfES3_PS1_EvbiiT2_T3_lllS6_lllT4_llli.private_seg_size, 0
	.set _ZL24rocblas_symm_hemm_kernelILb0ELb0ELi32EPK19rocblas_complex_numIfES3_PS1_EvbiiT2_T3_lllS6_lllT4_llli.uses_vcc, 1
	.set _ZL24rocblas_symm_hemm_kernelILb0ELb0ELi32EPK19rocblas_complex_numIfES3_PS1_EvbiiT2_T3_lllS6_lllT4_llli.uses_flat_scratch, 0
	.set _ZL24rocblas_symm_hemm_kernelILb0ELb0ELi32EPK19rocblas_complex_numIfES3_PS1_EvbiiT2_T3_lllS6_lllT4_llli.has_dyn_sized_stack, 0
	.set _ZL24rocblas_symm_hemm_kernelILb0ELb0ELi32EPK19rocblas_complex_numIfES3_PS1_EvbiiT2_T3_lllS6_lllT4_llli.has_recursion, 0
	.set _ZL24rocblas_symm_hemm_kernelILb0ELb0ELi32EPK19rocblas_complex_numIfES3_PS1_EvbiiT2_T3_lllS6_lllT4_llli.has_indirect_call, 0
	.section	.AMDGPU.csdata,"",@progbits
; Kernel info:
; codeLenInByte = 2392
; TotalNumSgprs: 46
; NumVgprs: 47
; ScratchSize: 0
; MemoryBound: 0
; FloatMode: 240
; IeeeMode: 1
; LDSByteSize: 16384 bytes/workgroup (compile time only)
; SGPRBlocks: 0
; VGPRBlocks: 2
; NumSGPRsForWavesPerEU: 46
; NumVGPRsForWavesPerEU: 47
; NamedBarCnt: 0
; Occupancy: 16
; WaveLimiterHint : 1
; COMPUTE_PGM_RSRC2:SCRATCH_EN: 0
; COMPUTE_PGM_RSRC2:USER_SGPR: 2
; COMPUTE_PGM_RSRC2:TRAP_HANDLER: 0
; COMPUTE_PGM_RSRC2:TGID_X_EN: 1
; COMPUTE_PGM_RSRC2:TGID_Y_EN: 1
; COMPUTE_PGM_RSRC2:TGID_Z_EN: 1
; COMPUTE_PGM_RSRC2:TIDIG_COMP_CNT: 1
	.section	.text._ZL24rocblas_symm_hemm_kernelILb0ELb1ELi32EPK19rocblas_complex_numIfES3_PS1_EvbiiT2_T3_lllS6_lllT4_llli,"axG",@progbits,_ZL24rocblas_symm_hemm_kernelILb0ELb1ELi32EPK19rocblas_complex_numIfES3_PS1_EvbiiT2_T3_lllS6_lllT4_llli,comdat
	.globl	_ZL24rocblas_symm_hemm_kernelILb0ELb1ELi32EPK19rocblas_complex_numIfES3_PS1_EvbiiT2_T3_lllS6_lllT4_llli ; -- Begin function _ZL24rocblas_symm_hemm_kernelILb0ELb1ELi32EPK19rocblas_complex_numIfES3_PS1_EvbiiT2_T3_lllS6_lllT4_llli
	.p2align	8
	.type	_ZL24rocblas_symm_hemm_kernelILb0ELb1ELi32EPK19rocblas_complex_numIfES3_PS1_EvbiiT2_T3_lllS6_lllT4_llli,@function
_ZL24rocblas_symm_hemm_kernelILb0ELb1ELi32EPK19rocblas_complex_numIfES3_PS1_EvbiiT2_T3_lllS6_lllT4_llli: ; @_ZL24rocblas_symm_hemm_kernelILb0ELb1ELi32EPK19rocblas_complex_numIfES3_PS1_EvbiiT2_T3_lllS6_lllT4_llli
; %bb.0:
	s_load_b512 s[4:19], s[0:1], 0x10
	s_wait_kmcnt 0x0
	s_load_b64 s[34:35], s[4:5], 0x0
	s_wait_kmcnt 0x0
	s_cmp_eq_f32 s34, 0
	s_cselect_b32 s2, -1, 0
	s_cmp_eq_f32 s35, 0
	s_cselect_b32 s3, -1, 0
	s_delay_alu instid0(SALU_CYCLE_1) | instskip(NEXT) | instid1(SALU_CYCLE_1)
	s_and_b32 s2, s2, s3
	s_and_b32 vcc_lo, exec_lo, s2
	s_cbranch_vccnz .LBB14_16
; %bb.1:
	s_load_b32 s31, s[0:1], 0x78
	s_bfe_u32 s2, ttmp6, 0x40014
	s_lshr_b32 s4, ttmp7, 16
	s_add_co_i32 s2, s2, 1
	s_bfe_u32 s5, ttmp6, 0x40008
	s_mul_i32 s2, s4, s2
	s_getreg_b32 s3, hwreg(HW_REG_IB_STS2, 6, 4)
	s_add_co_i32 s5, s5, s2
	s_cmp_eq_u32 s3, 0
	s_cselect_b32 s4, s4, s5
	s_wait_kmcnt 0x0
	s_cmp_ge_u32 s4, s31
	s_cbranch_scc1 .LBB14_16
; %bb.2:
	s_clause 0x1
	s_load_b96 s[28:30], s[0:1], 0x0
	s_load_b256 s[20:27], s[0:1], 0x50
	s_lshl_b64 s[36:37], s[8:9], 3
	v_bfe_u32 v20, v0, 10, 10
	v_and_b32_e32 v21, 0x3ff, v0
	s_load_b64 s[8:9], s[0:1], 0x70
	s_add_nc_u64 s[6:7], s[6:7], s[36:37]
	s_wait_xcnt 0x0
	s_add_nc_u64 s[0:1], s[0:1], 0x80
	v_dual_lshlrev_b32 v1, 3, v20 :: v_dual_lshlrev_b32 v22, 8, v21
	s_delay_alu instid0(VALU_DEP_1) | instskip(NEXT) | instid1(VALU_DEP_1)
	v_or_b32_e32 v23, 0x2000, v1
	v_dual_add_nc_u32 v24, v22, v1 :: v_dual_add_nc_u32 v25, v23, v22
	v_add_nc_u32_e32 v26, 0x800, v23
	s_wait_kmcnt 0x0
	s_bitcmp1_b32 s28, 0
	v_add_nc_u32_e32 v27, 0x1000, v23
	s_cselect_b32 s2, -1, 0
	s_add_co_i32 s5, s30, -1
	s_lshl_b64 s[38:39], s[24:25], 3
	s_bfe_u32 s25, ttmp6, 0x4000c
	s_bfe_u32 s33, ttmp6, 0x40010
	s_ashr_i32 s41, s5, 31
	s_and_b32 s28, ttmp7, 0xffff
	s_add_co_i32 s25, s25, 1
	s_add_co_i32 s33, s33, 1
	s_lshr_b32 s41, s41, 27
	s_and_b32 s24, ttmp6, 15
	s_bfe_u32 s40, ttmp6, 0x40004
	s_mul_i32 s25, ttmp9, s25
	s_mul_i32 s33, s28, s33
	s_add_co_i32 s5, s5, s41
	s_lshl_b64 s[16:17], s[16:17], 3
	s_add_co_i32 s25, s24, s25
	s_add_co_i32 s40, s40, s33
	s_ashr_i32 s24, s5, 5
	s_cmp_eq_u32 s3, 0
	s_add_nc_u64 s[14:15], s[14:15], s[16:17]
	s_cselect_b32 s3, ttmp9, s25
	s_add_nc_u64 s[16:17], s[22:23], s[38:39]
	v_lshl_add_u32 v0, s3, 5, v21
	s_cselect_b32 s25, s28, s40
	v_add_nc_u32_e32 v28, 0x1800, v23
	s_cmp_le_i32 s25, s24
	s_mov_b32 s5, 0
	v_ashrrev_i32_e32 v1, 31, v0
	v_cmp_gt_i32_e64 s3, s29, v0
	s_cselect_b32 s22, -1, 0
	s_cmp_gt_i32 s30, 0
	v_lshlrev_b64_e32 v[2:3], 3, v[0:1]
	s_cselect_b32 s23, -1, 0
	s_delay_alu instid0(VALU_DEP_1)
	v_add_nc_u64_e32 v[0:1], s[14:15], v[2:3]
	v_add_nc_u64_e32 v[2:3], s[16:17], v[2:3]
	s_mov_b32 s14, s35
	s_mov_b32 s15, s34
	s_branch .LBB14_4
.LBB14_3:                               ;   in Loop: Header=BB14_4 Depth=1
	s_add_co_i32 s4, s4, 0x10000
	s_delay_alu instid0(SALU_CYCLE_1)
	s_cmp_lt_u32 s4, s31
	s_cbranch_scc0 .LBB14_16
.LBB14_4:                               ; =>This Loop Header: Depth=1
                                        ;     Child Loop BB14_7 Depth 2
                                        ;       Child Loop BB14_10 Depth 3
	s_and_not1_b32 vcc_lo, exec_lo, s22
	s_cbranch_vccnz .LBB14_3
; %bb.5:                                ;   in Loop: Header=BB14_4 Depth=1
	s_load_b32 s28, s[0:1], 0x4
	s_mul_u64 s[36:37], s[20:21], s[4:5]
	s_mul_u64 s[38:39], s[8:9], s[4:5]
	;; [unrolled: 1-line block ×3, first 2 shown]
	v_lshl_add_u64 v[4:5], s[36:37], 3, v[0:1]
	v_lshl_add_u64 v[6:7], s[38:39], 3, v[2:3]
	s_lshl_b64 s[16:17], s[16:17], 3
	s_mov_b32 s29, s25
	s_add_nc_u64 s[16:17], s[6:7], s[16:17]
	s_branch .LBB14_7
.LBB14_6:                               ;   in Loop: Header=BB14_7 Depth=2
	s_wait_kmcnt 0x0
	s_add_co_i32 s29, s29, s28
	s_delay_alu instid0(SALU_CYCLE_1)
	s_cmp_gt_i32 s29, s24
	s_cbranch_scc1 .LBB14_3
.LBB14_7:                               ;   Parent Loop BB14_4 Depth=1
                                        ; =>  This Loop Header: Depth=2
                                        ;       Child Loop BB14_10 Depth 3
	s_and_not1_b32 vcc_lo, exec_lo, s23
	s_cbranch_vccnz .LBB14_6
; %bb.8:                                ;   in Loop: Header=BB14_7 Depth=2
	v_lshl_add_u32 v8, s29, 5, v20
	s_mov_b32 s36, 0
	s_delay_alu instid0(VALU_DEP_1) | instskip(SKIP_1) | instid1(VALU_DEP_2)
	v_ashrrev_i32_e32 v9, 31, v8
	v_cmp_gt_i32_e32 vcc_lo, s30, v8
	v_mul_u64_e32 v[10:11], s[26:27], v[8:9]
	s_and_b32 s33, s3, vcc_lo
	s_delay_alu instid0(VALU_DEP_1)
	v_lshl_add_u64 v[10:11], v[10:11], 3, v[6:7]
	s_branch .LBB14_10
.LBB14_9:                               ;   in Loop: Header=BB14_10 Depth=3
	s_wait_xcnt 0x0
	s_or_b32 exec_lo, exec_lo, s37
	s_add_co_i32 s36, s36, 32
	s_wait_storecnt 0x0
	s_cmp_ge_i32 s36, s30
	s_barrier_signal -1
	s_barrier_wait -1
	s_cbranch_scc1 .LBB14_6
.LBB14_10:                              ;   Parent Loop BB14_4 Depth=1
                                        ;     Parent Loop BB14_7 Depth=2
                                        ; =>    This Inner Loop Header: Depth=3
	v_dual_add_nc_u32 v16, s36, v20 :: v_dual_mov_b32 v12, 0
	v_dual_mov_b32 v14, 0 :: v_dual_mov_b32 v15, 0
	s_delay_alu instid0(VALU_DEP_2) | instskip(SKIP_1) | instid1(SALU_CYCLE_1)
	v_cmp_gt_i32_e32 vcc_lo, s30, v16
	s_and_b32 s38, s3, vcc_lo
	s_and_saveexec_b32 s37, s38
	s_cbranch_execz .LBB14_12
; %bb.11:                               ;   in Loop: Header=BB14_10 Depth=3
	v_ashrrev_i32_e32 v17, 31, v16
	s_delay_alu instid0(VALU_DEP_1) | instskip(NEXT) | instid1(VALU_DEP_1)
	v_mul_u64_e32 v[14:15], s[18:19], v[16:17]
	v_lshl_add_u64 v[14:15], v[14:15], 3, v[4:5]
	global_load_b64 v[14:15], v[14:15], off
.LBB14_12:                              ;   in Loop: Header=BB14_10 Depth=3
	s_wait_xcnt 0x0
	s_or_b32 exec_lo, exec_lo, s37
	v_add_nc_u32_e32 v9, s36, v21
	s_mov_b32 s37, exec_lo
	s_wait_loadcnt 0x0
	ds_store_b64 v24, v[14:15]
	v_dual_cndmask_b32 v13, v8, v9, s2 :: v_dual_cndmask_b32 v16, v9, v8, s2
	s_delay_alu instid0(VALU_DEP_1) | instskip(SKIP_2) | instid1(VALU_DEP_1)
	v_cmp_gt_i32_e32 vcc_lo, v13, v16
	v_dual_mov_b32 v13, 0 :: v_dual_cndmask_b32 v16, v9, v8
	v_cndmask_b32_e32 v18, v8, v9, vcc_lo
	v_max_i32_e32 v9, v16, v18
	s_delay_alu instid0(VALU_DEP_1)
	v_cmpx_gt_i32_e64 s30, v9
	s_cbranch_execz .LBB14_14
; %bb.13:                               ;   in Loop: Header=BB14_10 Depth=3
	v_dual_ashrrev_i32 v19, 31, v18 :: v_dual_ashrrev_i32 v17, 31, v16
	s_delay_alu instid0(VALU_DEP_1) | instskip(NEXT) | instid1(VALU_DEP_1)
	v_mul_u64_e32 v[12:13], s[10:11], v[18:19]
	v_lshl_add_u64 v[12:13], v[12:13], 3, s[16:17]
	s_delay_alu instid0(VALU_DEP_1)
	v_lshl_add_u64 v[12:13], v[16:17], 3, v[12:13]
	global_load_b64 v[12:13], v[12:13], off
.LBB14_14:                              ;   in Loop: Header=BB14_10 Depth=3
	s_wait_xcnt 0x0
	s_or_b32 exec_lo, exec_lo, s37
	s_wait_loadcnt 0x0
	ds_store_b64 v25, v[12:13]
	s_wait_dscnt 0x0
	s_barrier_signal -1
	s_barrier_wait -1
	s_and_saveexec_b32 s37, s33
	s_cbranch_execz .LBB14_9
; %bb.15:                               ;   in Loop: Header=BB14_10 Depth=3
	global_load_b64 v[12:13], v[10:11], off
	ds_load_2addr_b64 v[14:17], v23 offset1:32
	ds_load_b128 v[30:33], v22
	ds_load_b128 v[34:37], v22 offset:16
	ds_load_2addr_b64 v[38:41], v23 offset0:64 offset1:96
	ds_load_b128 v[42:45], v22 offset:32
	ds_load_2addr_b64 v[46:49], v23 offset0:128 offset1:160
	s_wait_dscnt 0x4
	v_dual_mul_f32 v9, v15, v31 :: v_dual_mul_f32 v18, v14, v31
	s_delay_alu instid0(VALU_DEP_1) | instskip(NEXT) | instid1(VALU_DEP_2)
	v_dual_mul_f32 v19, v16, v33 :: v_dual_fma_f32 v9, v14, v30, -v9
	v_dual_fmac_f32 v18, v15, v30 :: v_dual_mul_f32 v14, v17, v33
	s_wait_dscnt 0x2
	s_delay_alu instid0(VALU_DEP_2) | instskip(NEXT) | instid1(VALU_DEP_3)
	v_dual_mul_f32 v30, v39, v35 :: v_dual_fmac_f32 v19, v17, v32
	v_dual_mul_f32 v35, v38, v35 :: v_dual_add_f32 v9, 0, v9
	s_delay_alu instid0(VALU_DEP_3)
	v_dual_add_f32 v18, 0, v18 :: v_dual_fma_f32 v29, v16, v32, -v14
	ds_load_b128 v[14:17], v22 offset:48
	v_dual_fmac_f32 v35, v39, v34 :: v_dual_add_f32 v18, v18, v19
	v_dual_add_f32 v9, v9, v29 :: v_dual_fma_f32 v29, v38, v34, -v30
	v_dual_mul_f32 v19, v41, v37 :: v_dual_mul_f32 v34, v40, v37
	ds_load_2addr_b64 v[30:33], v23 offset0:192 offset1:224
	v_dual_add_f32 v18, v18, v35 :: v_dual_add_f32 v9, v9, v29
	v_dual_fma_f32 v19, v40, v36, -v19 :: v_dual_fmac_f32 v34, v41, v36
	s_wait_dscnt 0x2
	v_dual_mul_f32 v29, v47, v43 :: v_dual_mul_f32 v43, v46, v43
	s_delay_alu instid0(VALU_DEP_2) | instskip(SKIP_4) | instid1(VALU_DEP_2)
	v_dual_add_f32 v9, v9, v19 :: v_dual_add_f32 v18, v18, v34
	ds_load_b128 v[34:37], v22 offset:64
	ds_load_2addr_b64 v[38:41], v26 offset1:32
	v_dual_fma_f32 v19, v46, v42, -v29 :: v_dual_fmac_f32 v43, v47, v42
	v_dual_mul_f32 v29, v49, v45 :: v_dual_mul_f32 v42, v48, v45
	v_add_f32_e32 v9, v9, v19
	s_delay_alu instid0(VALU_DEP_2) | instskip(SKIP_1) | instid1(VALU_DEP_3)
	v_dual_add_f32 v18, v18, v43 :: v_dual_fma_f32 v19, v48, v44, -v29
	s_wait_dscnt 0x2
	v_dual_fmac_f32 v42, v49, v44 :: v_dual_mul_f32 v29, v31, v15
	v_mul_f32_e32 v15, v30, v15
	s_delay_alu instid0(VALU_DEP_2) | instskip(NEXT) | instid1(VALU_DEP_2)
	v_dual_add_f32 v9, v9, v19 :: v_dual_add_f32 v18, v18, v42
	v_dual_fma_f32 v19, v30, v14, -v29 :: v_dual_fmac_f32 v15, v31, v14
	v_dual_mul_f32 v14, v33, v17 :: v_dual_mul_f32 v17, v32, v17
	ds_load_b128 v[42:45], v22 offset:80
	ds_load_2addr_b64 v[46:49], v26 offset0:64 offset1:96
	v_add_f32_e32 v9, v9, v19
	s_wait_dscnt 0x2
	v_dual_mul_f32 v19, v39, v35 :: v_dual_fma_f32 v14, v32, v16, -v14
	v_dual_add_f32 v15, v18, v15 :: v_dual_fmac_f32 v17, v33, v16
	v_dual_mul_f32 v18, v38, v35 :: v_dual_mul_f32 v29, v41, v37
	s_delay_alu instid0(VALU_DEP_3) | instskip(NEXT) | instid1(VALU_DEP_3)
	v_add_f32_e32 v9, v9, v14
	v_dual_fma_f32 v14, v38, v34, -v19 :: v_dual_add_f32 v19, v15, v17
	s_delay_alu instid0(VALU_DEP_3) | instskip(NEXT) | instid1(VALU_DEP_2)
	v_dual_fmac_f32 v18, v39, v34 :: v_dual_mul_f32 v34, v40, v37
	v_dual_fma_f32 v29, v40, v36, -v29 :: v_dual_add_f32 v9, v9, v14
	ds_load_b128 v[14:17], v22 offset:96
	ds_load_2addr_b64 v[30:33], v26 offset0:128 offset1:160
	v_dual_add_f32 v18, v19, v18 :: v_dual_fmac_f32 v34, v41, v36
	s_wait_dscnt 0x2
	v_dual_add_f32 v9, v9, v29 :: v_dual_mul_f32 v35, v47, v43
	v_mul_f32_e32 v19, v46, v43
	s_delay_alu instid0(VALU_DEP_3) | instskip(NEXT) | instid1(VALU_DEP_3)
	v_add_f32_e32 v18, v18, v34
	v_dual_fma_f32 v29, v46, v42, -v35 :: v_dual_mul_f32 v35, v49, v45
	s_delay_alu instid0(VALU_DEP_3) | instskip(NEXT) | instid1(VALU_DEP_2)
	v_dual_fmac_f32 v19, v47, v42 :: v_dual_mul_f32 v42, v48, v45
	v_dual_add_f32 v9, v9, v29 :: v_dual_fma_f32 v29, v48, v44, -v35
	ds_load_b128 v[34:37], v22 offset:112
	ds_load_2addr_b64 v[38:41], v26 offset0:192 offset1:224
	v_dual_add_f32 v18, v18, v19 :: v_dual_fmac_f32 v42, v49, v44
	s_wait_dscnt 0x2
	v_dual_mul_f32 v43, v31, v15 :: v_dual_add_f32 v9, v9, v29
	s_delay_alu instid0(VALU_DEP_1) | instskip(NEXT) | instid1(VALU_DEP_3)
	v_dual_mul_f32 v15, v30, v15 :: v_dual_fma_f32 v19, v30, v14, -v43
	v_add_f32_e32 v18, v18, v42
	s_delay_alu instid0(VALU_DEP_2)
	v_dual_fmac_f32 v15, v31, v14 :: v_dual_mul_f32 v14, v33, v17
	ds_load_b128 v[42:45], v22 offset:128
	ds_load_2addr_b64 v[46:49], v27 offset1:32
	v_dual_add_f32 v9, v9, v19 :: v_dual_mul_f32 v17, v32, v17
	v_dual_add_f32 v15, v18, v15 :: v_dual_fma_f32 v14, v32, v16, -v14
	s_wait_dscnt 0x2
	s_delay_alu instid0(VALU_DEP_2) | instskip(NEXT) | instid1(VALU_DEP_2)
	v_dual_fmac_f32 v17, v33, v16 :: v_dual_mul_f32 v16, v39, v35
	v_dual_mul_f32 v18, v38, v35 :: v_dual_add_f32 v9, v9, v14
	v_mul_f32_e32 v35, v40, v37
	s_delay_alu instid0(VALU_DEP_3) | instskip(NEXT) | instid1(VALU_DEP_3)
	v_dual_add_f32 v19, v15, v17 :: v_dual_fma_f32 v29, v38, v34, -v16
	v_fmac_f32_e32 v18, v39, v34
	ds_load_b128 v[14:17], v22 offset:144
	ds_load_2addr_b64 v[30:33], v27 offset0:64 offset1:96
	v_dual_mul_f32 v34, v41, v37 :: v_dual_fmac_f32 v35, v41, v36
	v_dual_add_f32 v9, v9, v29 :: v_dual_add_f32 v18, v19, v18
	s_wait_dscnt 0x2
	v_dual_mul_f32 v29, v47, v43 :: v_dual_mul_f32 v43, v46, v43
	s_delay_alu instid0(VALU_DEP_2) | instskip(SKIP_4) | instid1(VALU_DEP_1)
	v_dual_fma_f32 v19, v40, v36, -v34 :: v_dual_add_f32 v18, v18, v35
	ds_load_b128 v[34:37], v22 offset:160
	ds_load_2addr_b64 v[38:41], v27 offset0:128 offset1:160
	v_dual_fmac_f32 v43, v47, v42 :: v_dual_add_f32 v9, v9, v19
	v_dual_fma_f32 v19, v46, v42, -v29 :: v_dual_mul_f32 v29, v49, v45
	v_dual_mul_f32 v42, v48, v45 :: v_dual_add_f32 v9, v9, v19
	s_wait_dscnt 0x2
	s_delay_alu instid0(VALU_DEP_2) | instskip(NEXT) | instid1(VALU_DEP_2)
	v_dual_fma_f32 v19, v48, v44, -v29 :: v_dual_mul_f32 v29, v31, v15
	v_dual_fmac_f32 v42, v49, v44 :: v_dual_mul_f32 v15, v30, v15
	s_delay_alu instid0(VALU_DEP_2) | instskip(NEXT) | instid1(VALU_DEP_2)
	v_dual_add_f32 v9, v9, v19 :: v_dual_fma_f32 v19, v30, v14, -v29
	v_dual_add_f32 v18, v18, v43 :: v_dual_fmac_f32 v15, v31, v14
	v_dual_mul_f32 v14, v33, v17 :: v_dual_mul_f32 v17, v32, v17
	s_delay_alu instid0(VALU_DEP_2)
	v_add_f32_e32 v18, v18, v42
	ds_load_b128 v[42:45], v22 offset:176
	ds_load_2addr_b64 v[46:49], v27 offset0:192 offset1:224
	v_dual_add_f32 v9, v9, v19 :: v_dual_fma_f32 v14, v32, v16, -v14
	s_wait_dscnt 0x2
	v_dual_mul_f32 v19, v39, v35 :: v_dual_fmac_f32 v17, v33, v16
	v_add_f32_e32 v15, v18, v15
	s_delay_alu instid0(VALU_DEP_3) | instskip(NEXT) | instid1(VALU_DEP_3)
	v_dual_mul_f32 v18, v38, v35 :: v_dual_add_f32 v9, v9, v14
	v_dual_fma_f32 v14, v38, v34, -v19 :: v_dual_mul_f32 v16, v41, v37
	s_delay_alu instid0(VALU_DEP_3) | instskip(NEXT) | instid1(VALU_DEP_3)
	v_add_f32_e32 v19, v15, v17
	v_dual_fmac_f32 v18, v39, v34 :: v_dual_mul_f32 v34, v40, v37
	s_delay_alu instid0(VALU_DEP_3)
	v_dual_add_f32 v9, v9, v14 :: v_dual_fma_f32 v29, v40, v36, -v16
	ds_load_b128 v[14:17], v22 offset:192
	ds_load_2addr_b64 v[30:33], v28 offset1:32
	v_dual_add_f32 v18, v19, v18 :: v_dual_fmac_f32 v34, v41, v36
	s_wait_dscnt 0x2
	v_dual_add_f32 v9, v9, v29 :: v_dual_mul_f32 v35, v47, v43
	s_delay_alu instid0(VALU_DEP_1) | instskip(NEXT) | instid1(VALU_DEP_3)
	v_dual_mul_f32 v19, v46, v43 :: v_dual_fma_f32 v29, v46, v42, -v35
	v_add_f32_e32 v18, v18, v34
	ds_load_b128 v[34:37], v22 offset:208
	ds_load_2addr_b64 v[38:41], v28 offset0:64 offset1:96
	v_dual_fmac_f32 v19, v47, v42 :: v_dual_add_f32 v9, v9, v29
	v_dual_mul_f32 v29, v49, v45 :: v_dual_mul_f32 v42, v48, v45
	s_delay_alu instid0(VALU_DEP_1) | instskip(SKIP_1) | instid1(VALU_DEP_2)
	v_dual_add_f32 v18, v18, v19 :: v_dual_fma_f32 v19, v48, v44, -v29
	s_wait_dscnt 0x2
	v_dual_fmac_f32 v42, v49, v44 :: v_dual_mul_f32 v29, v31, v15
	v_mul_f32_e32 v15, v30, v15
	s_delay_alu instid0(VALU_DEP_2) | instskip(NEXT) | instid1(VALU_DEP_2)
	v_dual_add_f32 v9, v9, v19 :: v_dual_add_f32 v18, v18, v42
	v_dual_fma_f32 v19, v30, v14, -v29 :: v_dual_fmac_f32 v15, v31, v14
	v_dual_mul_f32 v14, v33, v17 :: v_dual_mul_f32 v17, v32, v17
	ds_load_b128 v[42:45], v22 offset:224
	ds_load_2addr_b64 v[46:49], v28 offset0:128 offset1:160
	v_add_f32_e32 v9, v9, v19
	v_dual_add_f32 v15, v18, v15 :: v_dual_fma_f32 v14, v32, v16, -v14
	s_wait_dscnt 0x2
	v_dual_fmac_f32 v17, v33, v16 :: v_dual_mul_f32 v18, v38, v35
	s_delay_alu instid0(VALU_DEP_2) | instskip(NEXT) | instid1(VALU_DEP_2)
	v_dual_add_f32 v9, v9, v14 :: v_dual_mul_f32 v29, v39, v35
	v_fmac_f32_e32 v18, v39, v34
	s_delay_alu instid0(VALU_DEP_3)
	v_add_f32_e32 v19, v15, v17
	ds_load_b128 v[14:17], v22 offset:240
	ds_load_2addr_b64 v[30:33], v28 offset0:192 offset1:224
	v_dual_fma_f32 v29, v38, v34, -v29 :: v_dual_mul_f32 v35, v40, v37
	v_dual_add_f32 v18, v19, v18 :: v_dual_mul_f32 v19, v41, v37
	s_wait_dscnt 0x2
	s_delay_alu instid0(VALU_DEP_2) | instskip(NEXT) | instid1(VALU_DEP_3)
	v_dual_add_f32 v9, v9, v29 :: v_dual_mul_f32 v34, v46, v43
	v_fmac_f32_e32 v35, v41, v36
	s_delay_alu instid0(VALU_DEP_3) | instskip(NEXT) | instid1(VALU_DEP_2)
	v_dual_fma_f32 v19, v40, v36, -v19 :: v_dual_mul_f32 v29, v47, v43
	v_dual_fmac_f32 v34, v47, v42 :: v_dual_add_f32 v18, v18, v35
	s_delay_alu instid0(VALU_DEP_2) | instskip(NEXT) | instid1(VALU_DEP_3)
	v_dual_mul_f32 v35, v48, v45 :: v_dual_add_f32 v9, v9, v19
	v_dual_fma_f32 v19, v46, v42, -v29 :: v_dual_mul_f32 v29, v49, v45
	s_delay_alu instid0(VALU_DEP_2) | instskip(SKIP_2) | instid1(VALU_DEP_3)
	v_dual_add_f32 v18, v18, v34 :: v_dual_fmac_f32 v35, v49, v44
	s_wait_dscnt 0x0
	v_mul_f32_e32 v34, v30, v15
	v_dual_add_f32 v9, v9, v19 :: v_dual_fma_f32 v19, v48, v44, -v29
	v_mul_f32_e32 v15, v31, v15
	v_dual_add_f32 v18, v18, v35 :: v_dual_mul_f32 v29, v32, v17
	s_delay_alu instid0(VALU_DEP_4) | instskip(NEXT) | instid1(VALU_DEP_3)
	v_dual_fmac_f32 v34, v31, v14 :: v_dual_mul_f32 v17, v33, v17
	v_dual_add_f32 v9, v9, v19 :: v_dual_fma_f32 v14, v30, v14, -v15
	s_delay_alu instid0(VALU_DEP_2) | instskip(NEXT) | instid1(VALU_DEP_3)
	v_dual_fmac_f32 v29, v33, v16 :: v_dual_add_f32 v15, v18, v34
	v_fma_f32 v18, v32, v16, -v17
	v_mov_b64_e32 v[16:17], s[14:15]
	s_delay_alu instid0(VALU_DEP_3) | instskip(NEXT) | instid1(VALU_DEP_1)
	v_dual_add_f32 v9, v9, v14 :: v_dual_add_f32 v14, v15, v29
	v_add_f32_e32 v18, v9, v18
	s_delay_alu instid0(VALU_DEP_2) | instskip(SKIP_1) | instid1(VALU_DEP_1)
	v_pk_mul_f32 v[14:15], v[16:17], v[14:15] op_sel_hi:[1,0]
	v_mov_b64_e32 v[16:17], s[34:35]
	v_pk_fma_f32 v[30:31], v[16:17], v[18:19], v[14:15] op_sel_hi:[1,0,1]
	v_pk_fma_f32 v[14:15], v[16:17], v[18:19], v[14:15] neg_lo:[0,0,1] neg_hi:[0,0,1]
	s_delay_alu instid0(VALU_DEP_2) | instskip(SKIP_1) | instid1(VALU_DEP_1)
	v_mov_b32_e32 v15, v31
	s_wait_loadcnt 0x0
	v_pk_add_f32 v[12:13], v[12:13], v[14:15]
	global_store_b64 v[10:11], v[12:13], off
	s_branch .LBB14_9
.LBB14_16:
	s_endpgm
	.section	.rodata,"a",@progbits
	.p2align	6, 0x0
	.amdhsa_kernel _ZL24rocblas_symm_hemm_kernelILb0ELb1ELi32EPK19rocblas_complex_numIfES3_PS1_EvbiiT2_T3_lllS6_lllT4_llli
		.amdhsa_group_segment_fixed_size 16384
		.amdhsa_private_segment_fixed_size 0
		.amdhsa_kernarg_size 384
		.amdhsa_user_sgpr_count 2
		.amdhsa_user_sgpr_dispatch_ptr 0
		.amdhsa_user_sgpr_queue_ptr 0
		.amdhsa_user_sgpr_kernarg_segment_ptr 1
		.amdhsa_user_sgpr_dispatch_id 0
		.amdhsa_user_sgpr_kernarg_preload_length 0
		.amdhsa_user_sgpr_kernarg_preload_offset 0
		.amdhsa_user_sgpr_private_segment_size 0
		.amdhsa_wavefront_size32 1
		.amdhsa_uses_dynamic_stack 0
		.amdhsa_enable_private_segment 0
		.amdhsa_system_sgpr_workgroup_id_x 1
		.amdhsa_system_sgpr_workgroup_id_y 1
		.amdhsa_system_sgpr_workgroup_id_z 1
		.amdhsa_system_sgpr_workgroup_info 0
		.amdhsa_system_vgpr_workitem_id 1
		.amdhsa_next_free_vgpr 50
		.amdhsa_next_free_sgpr 42
		.amdhsa_named_barrier_count 0
		.amdhsa_reserve_vcc 1
		.amdhsa_float_round_mode_32 0
		.amdhsa_float_round_mode_16_64 0
		.amdhsa_float_denorm_mode_32 3
		.amdhsa_float_denorm_mode_16_64 3
		.amdhsa_fp16_overflow 0
		.amdhsa_memory_ordered 1
		.amdhsa_forward_progress 1
		.amdhsa_inst_pref_size 19
		.amdhsa_round_robin_scheduling 0
		.amdhsa_exception_fp_ieee_invalid_op 0
		.amdhsa_exception_fp_denorm_src 0
		.amdhsa_exception_fp_ieee_div_zero 0
		.amdhsa_exception_fp_ieee_overflow 0
		.amdhsa_exception_fp_ieee_underflow 0
		.amdhsa_exception_fp_ieee_inexact 0
		.amdhsa_exception_int_div_zero 0
	.end_amdhsa_kernel
	.section	.text._ZL24rocblas_symm_hemm_kernelILb0ELb1ELi32EPK19rocblas_complex_numIfES3_PS1_EvbiiT2_T3_lllS6_lllT4_llli,"axG",@progbits,_ZL24rocblas_symm_hemm_kernelILb0ELb1ELi32EPK19rocblas_complex_numIfES3_PS1_EvbiiT2_T3_lllS6_lllT4_llli,comdat
.Lfunc_end14:
	.size	_ZL24rocblas_symm_hemm_kernelILb0ELb1ELi32EPK19rocblas_complex_numIfES3_PS1_EvbiiT2_T3_lllS6_lllT4_llli, .Lfunc_end14-_ZL24rocblas_symm_hemm_kernelILb0ELb1ELi32EPK19rocblas_complex_numIfES3_PS1_EvbiiT2_T3_lllS6_lllT4_llli
                                        ; -- End function
	.set _ZL24rocblas_symm_hemm_kernelILb0ELb1ELi32EPK19rocblas_complex_numIfES3_PS1_EvbiiT2_T3_lllS6_lllT4_llli.num_vgpr, 50
	.set _ZL24rocblas_symm_hemm_kernelILb0ELb1ELi32EPK19rocblas_complex_numIfES3_PS1_EvbiiT2_T3_lllS6_lllT4_llli.num_agpr, 0
	.set _ZL24rocblas_symm_hemm_kernelILb0ELb1ELi32EPK19rocblas_complex_numIfES3_PS1_EvbiiT2_T3_lllS6_lllT4_llli.numbered_sgpr, 42
	.set _ZL24rocblas_symm_hemm_kernelILb0ELb1ELi32EPK19rocblas_complex_numIfES3_PS1_EvbiiT2_T3_lllS6_lllT4_llli.num_named_barrier, 0
	.set _ZL24rocblas_symm_hemm_kernelILb0ELb1ELi32EPK19rocblas_complex_numIfES3_PS1_EvbiiT2_T3_lllS6_lllT4_llli.private_seg_size, 0
	.set _ZL24rocblas_symm_hemm_kernelILb0ELb1ELi32EPK19rocblas_complex_numIfES3_PS1_EvbiiT2_T3_lllS6_lllT4_llli.uses_vcc, 1
	.set _ZL24rocblas_symm_hemm_kernelILb0ELb1ELi32EPK19rocblas_complex_numIfES3_PS1_EvbiiT2_T3_lllS6_lllT4_llli.uses_flat_scratch, 0
	.set _ZL24rocblas_symm_hemm_kernelILb0ELb1ELi32EPK19rocblas_complex_numIfES3_PS1_EvbiiT2_T3_lllS6_lllT4_llli.has_dyn_sized_stack, 0
	.set _ZL24rocblas_symm_hemm_kernelILb0ELb1ELi32EPK19rocblas_complex_numIfES3_PS1_EvbiiT2_T3_lllS6_lllT4_llli.has_recursion, 0
	.set _ZL24rocblas_symm_hemm_kernelILb0ELb1ELi32EPK19rocblas_complex_numIfES3_PS1_EvbiiT2_T3_lllS6_lllT4_llli.has_indirect_call, 0
	.section	.AMDGPU.csdata,"",@progbits
; Kernel info:
; codeLenInByte = 2384
; TotalNumSgprs: 44
; NumVgprs: 50
; ScratchSize: 0
; MemoryBound: 0
; FloatMode: 240
; IeeeMode: 1
; LDSByteSize: 16384 bytes/workgroup (compile time only)
; SGPRBlocks: 0
; VGPRBlocks: 3
; NumSGPRsForWavesPerEU: 44
; NumVGPRsForWavesPerEU: 50
; NamedBarCnt: 0
; Occupancy: 16
; WaveLimiterHint : 1
; COMPUTE_PGM_RSRC2:SCRATCH_EN: 0
; COMPUTE_PGM_RSRC2:USER_SGPR: 2
; COMPUTE_PGM_RSRC2:TRAP_HANDLER: 0
; COMPUTE_PGM_RSRC2:TGID_X_EN: 1
; COMPUTE_PGM_RSRC2:TGID_Y_EN: 1
; COMPUTE_PGM_RSRC2:TGID_Z_EN: 1
; COMPUTE_PGM_RSRC2:TIDIG_COMP_CNT: 1
	.section	.text._ZL25rocblas_symm_scale_kernelILi128ELi8E19rocblas_complex_numIfEPS1_EviiT1_T2_llli,"axG",@progbits,_ZL25rocblas_symm_scale_kernelILi128ELi8E19rocblas_complex_numIfEPS1_EviiT1_T2_llli,comdat
	.globl	_ZL25rocblas_symm_scale_kernelILi128ELi8E19rocblas_complex_numIfEPS1_EviiT1_T2_llli ; -- Begin function _ZL25rocblas_symm_scale_kernelILi128ELi8E19rocblas_complex_numIfEPS1_EviiT1_T2_llli
	.p2align	8
	.type	_ZL25rocblas_symm_scale_kernelILi128ELi8E19rocblas_complex_numIfEPS1_EviiT1_T2_llli,@function
_ZL25rocblas_symm_scale_kernelILi128ELi8E19rocblas_complex_numIfEPS1_EviiT1_T2_llli: ; @_ZL25rocblas_symm_scale_kernelILi128ELi8E19rocblas_complex_numIfEPS1_EviiT1_T2_llli
; %bb.0:
	s_load_b128 s[12:15], s[0:1], 0x0
	s_wait_kmcnt 0x0
	s_cmp_eq_f32 s15, 0
	s_cselect_b32 s2, -1, 0
	s_cmp_eq_f32 s14, 1.0
	s_cselect_b32 s3, -1, 0
	s_delay_alu instid0(SALU_CYCLE_1) | instskip(NEXT) | instid1(SALU_CYCLE_1)
	s_and_b32 s2, s3, s2
	s_and_b32 vcc_lo, exec_lo, s2
	s_cbranch_vccnz .LBB15_9
; %bb.1:
	s_load_b32 s18, s[0:1], 0x30
	s_bfe_u32 s2, ttmp6, 0x40014
	s_lshr_b32 s3, ttmp7, 16
	s_add_co_i32 s2, s2, 1
	s_bfe_u32 s5, ttmp6, 0x40008
	s_mul_i32 s4, s3, s2
	s_getreg_b32 s2, hwreg(HW_REG_IB_STS2, 6, 4)
	s_add_co_i32 s5, s5, s4
	s_cmp_eq_u32 s2, 0
	s_cselect_b32 s19, s3, s5
	s_wait_kmcnt 0x0
	s_cmp_ge_u32 s19, s18
	s_cbranch_scc1 .LBB15_9
; %bb.2:
	s_load_b256 s[4:11], s[0:1], 0x10
	s_bfe_u32 s3, ttmp6, 0x40010
	s_bfe_u32 s17, ttmp6, 0x4000c
	s_and_b32 s16, ttmp7, 0xffff
	s_add_co_i32 s3, s3, 1
	s_add_co_i32 s17, s17, 1
	s_mul_i32 s3, s16, s3
	s_bfe_u32 s20, ttmp6, 0x40004
	s_and_b32 s21, ttmp6, 15
	s_mul_i32 s17, ttmp9, s17
	s_add_co_i32 s20, s20, s3
	s_add_co_i32 s21, s21, s17
	v_bfe_u32 v1, v0, 10, 10
	s_cmp_eq_u32 s2, 0
	v_mov_b32_e32 v3, 0
	s_cselect_b32 s2, s16, s20
	v_and_b32_e32 v0, 0x3ff, v0
	v_lshl_add_u32 v2, s2, 3, v1
	s_cselect_b32 s2, ttmp9, s21
	s_ashr_i32 s17, s13, 31
	s_mov_b32 s16, s13
	v_lshl_add_u32 v0, s2, 7, v0
	s_wait_kmcnt 0x0
	v_mul_u64_e32 v[4:5], s[8:9], v[2:3]
	v_cmp_gt_i64_e32 vcc_lo, s[16:17], v[2:3]
	s_or_b32 s3, s14, s15
	v_mov_b32_e32 v1, v3
	v_cmp_gt_u32_e64 s2, s12, v0
	s_bitset0_b32 s3, 31
	s_add_nc_u64 s[0:1], s[0:1], 56
	s_and_b32 s12, s2, vcc_lo
	s_cmp_lg_u32 s3, 0
	s_cselect_b32 s13, -1, 0
	s_lshl_b64 s[2:3], s[6:7], 3
	s_mov_b32 s6, s14
	s_mov_b32 s7, s14
	;; [unrolled: 1-line block ×3, first 2 shown]
	s_lshl_b64 s[8:9], s[8:9], 3
	v_lshl_add_u64 v[4:5], v[4:5], 3, s[2:3]
	s_mov_b32 s3, 0
	s_delay_alu instid0(VALU_DEP_1) | instskip(NEXT) | instid1(VALU_DEP_1)
	v_lshl_add_u64 v[0:1], v[0:1], 3, v[4:5]
	v_add_nc_u64_e32 v[0:1], s[4:5], v[0:1]
	s_lshl_b64 s[4:5], s[10:11], 3
	s_branch .LBB15_4
.LBB15_3:                               ;   in Loop: Header=BB15_4 Depth=1
	s_or_b32 exec_lo, exec_lo, s20
	s_add_co_i32 s19, s19, 0x10000
	s_delay_alu instid0(SALU_CYCLE_1)
	s_cmp_lt_u32 s19, s18
	s_cbranch_scc0 .LBB15_9
.LBB15_4:                               ; =>This Loop Header: Depth=1
                                        ;     Child Loop BB15_7 Depth 2
	s_and_saveexec_b32 s20, s12
	s_cbranch_execz .LBB15_3
; %bb.5:                                ;   in Loop: Header=BB15_4 Depth=1
	s_load_b32 s2, s[0:1], 0x4
	s_delay_alu instid0(VALU_DEP_1) | instskip(SKIP_2) | instid1(VALU_DEP_2)
	v_mad_nc_u64_u32 v[4:5], s4, s19, v[0:1]
	v_mov_b64_e32 v[6:7], v[2:3]
	s_mov_b32 s21, 0
	v_mad_u32 v5, s5, s19, v5
	s_wait_kmcnt 0x0
	s_lshl_b32 s2, s2, 3
	s_delay_alu instid0(SALU_CYCLE_1)
	s_mul_u64 s[10:11], s[8:9], s[2:3]
	s_branch .LBB15_7
.LBB15_6:                               ;   in Loop: Header=BB15_7 Depth=2
	v_add_nc_u64_e32 v[6:7], s[2:3], v[6:7]
	global_store_b64 v[4:5], v[8:9], off
	s_wait_xcnt 0x0
	v_add_nc_u64_e32 v[4:5], s[10:11], v[4:5]
	v_cmp_le_i64_e32 vcc_lo, s[16:17], v[6:7]
	s_or_b32 s21, vcc_lo, s21
	s_delay_alu instid0(SALU_CYCLE_1)
	s_and_not1_b32 exec_lo, exec_lo, s21
	s_cbranch_execz .LBB15_3
.LBB15_7:                               ;   Parent Loop BB15_4 Depth=1
                                        ; =>  This Inner Loop Header: Depth=2
	v_dual_mov_b32 v8, 0 :: v_dual_mov_b32 v9, 0
	s_and_not1_b32 vcc_lo, exec_lo, s13
	s_cbranch_vccnz .LBB15_6
; %bb.8:                                ;   in Loop: Header=BB15_7 Depth=2
	global_load_b64 v[8:9], v[4:5], off
	v_mov_b64_e32 v[10:11], s[14:15]
	v_mov_b64_e32 v[12:13], s[6:7]
	s_wait_loadcnt 0x0
	s_delay_alu instid0(VALU_DEP_2) | instskip(NEXT) | instid1(VALU_DEP_1)
	v_pk_mul_f32 v[10:11], v[8:9], v[10:11] op_sel:[1,0] op_sel_hi:[0,1]
	v_pk_fma_f32 v[14:15], v[8:9], v[12:13], v[10:11]
	v_pk_fma_f32 v[8:9], v[8:9], v[12:13], v[10:11] neg_lo:[0,0,1] neg_hi:[0,0,1]
	s_delay_alu instid0(VALU_DEP_2)
	v_mov_b32_e32 v9, v15
	s_branch .LBB15_6
.LBB15_9:
	s_endpgm
	.section	.rodata,"a",@progbits
	.p2align	6, 0x0
	.amdhsa_kernel _ZL25rocblas_symm_scale_kernelILi128ELi8E19rocblas_complex_numIfEPS1_EviiT1_T2_llli
		.amdhsa_group_segment_fixed_size 0
		.amdhsa_private_segment_fixed_size 0
		.amdhsa_kernarg_size 312
		.amdhsa_user_sgpr_count 2
		.amdhsa_user_sgpr_dispatch_ptr 0
		.amdhsa_user_sgpr_queue_ptr 0
		.amdhsa_user_sgpr_kernarg_segment_ptr 1
		.amdhsa_user_sgpr_dispatch_id 0
		.amdhsa_user_sgpr_kernarg_preload_length 0
		.amdhsa_user_sgpr_kernarg_preload_offset 0
		.amdhsa_user_sgpr_private_segment_size 0
		.amdhsa_wavefront_size32 1
		.amdhsa_uses_dynamic_stack 0
		.amdhsa_enable_private_segment 0
		.amdhsa_system_sgpr_workgroup_id_x 1
		.amdhsa_system_sgpr_workgroup_id_y 1
		.amdhsa_system_sgpr_workgroup_id_z 1
		.amdhsa_system_sgpr_workgroup_info 0
		.amdhsa_system_vgpr_workitem_id 1
		.amdhsa_next_free_vgpr 16
		.amdhsa_next_free_sgpr 22
		.amdhsa_named_barrier_count 0
		.amdhsa_reserve_vcc 1
		.amdhsa_float_round_mode_32 0
		.amdhsa_float_round_mode_16_64 0
		.amdhsa_float_denorm_mode_32 3
		.amdhsa_float_denorm_mode_16_64 3
		.amdhsa_fp16_overflow 0
		.amdhsa_memory_ordered 1
		.amdhsa_forward_progress 1
		.amdhsa_inst_pref_size 5
		.amdhsa_round_robin_scheduling 0
		.amdhsa_exception_fp_ieee_invalid_op 0
		.amdhsa_exception_fp_denorm_src 0
		.amdhsa_exception_fp_ieee_div_zero 0
		.amdhsa_exception_fp_ieee_overflow 0
		.amdhsa_exception_fp_ieee_underflow 0
		.amdhsa_exception_fp_ieee_inexact 0
		.amdhsa_exception_int_div_zero 0
	.end_amdhsa_kernel
	.section	.text._ZL25rocblas_symm_scale_kernelILi128ELi8E19rocblas_complex_numIfEPS1_EviiT1_T2_llli,"axG",@progbits,_ZL25rocblas_symm_scale_kernelILi128ELi8E19rocblas_complex_numIfEPS1_EviiT1_T2_llli,comdat
.Lfunc_end15:
	.size	_ZL25rocblas_symm_scale_kernelILi128ELi8E19rocblas_complex_numIfEPS1_EviiT1_T2_llli, .Lfunc_end15-_ZL25rocblas_symm_scale_kernelILi128ELi8E19rocblas_complex_numIfEPS1_EviiT1_T2_llli
                                        ; -- End function
	.set _ZL25rocblas_symm_scale_kernelILi128ELi8E19rocblas_complex_numIfEPS1_EviiT1_T2_llli.num_vgpr, 16
	.set _ZL25rocblas_symm_scale_kernelILi128ELi8E19rocblas_complex_numIfEPS1_EviiT1_T2_llli.num_agpr, 0
	.set _ZL25rocblas_symm_scale_kernelILi128ELi8E19rocblas_complex_numIfEPS1_EviiT1_T2_llli.numbered_sgpr, 22
	.set _ZL25rocblas_symm_scale_kernelILi128ELi8E19rocblas_complex_numIfEPS1_EviiT1_T2_llli.num_named_barrier, 0
	.set _ZL25rocblas_symm_scale_kernelILi128ELi8E19rocblas_complex_numIfEPS1_EviiT1_T2_llli.private_seg_size, 0
	.set _ZL25rocblas_symm_scale_kernelILi128ELi8E19rocblas_complex_numIfEPS1_EviiT1_T2_llli.uses_vcc, 1
	.set _ZL25rocblas_symm_scale_kernelILi128ELi8E19rocblas_complex_numIfEPS1_EviiT1_T2_llli.uses_flat_scratch, 0
	.set _ZL25rocblas_symm_scale_kernelILi128ELi8E19rocblas_complex_numIfEPS1_EviiT1_T2_llli.has_dyn_sized_stack, 0
	.set _ZL25rocblas_symm_scale_kernelILi128ELi8E19rocblas_complex_numIfEPS1_EviiT1_T2_llli.has_recursion, 0
	.set _ZL25rocblas_symm_scale_kernelILi128ELi8E19rocblas_complex_numIfEPS1_EviiT1_T2_llli.has_indirect_call, 0
	.section	.AMDGPU.csdata,"",@progbits
; Kernel info:
; codeLenInByte = 552
; TotalNumSgprs: 24
; NumVgprs: 16
; ScratchSize: 0
; MemoryBound: 0
; FloatMode: 240
; IeeeMode: 1
; LDSByteSize: 0 bytes/workgroup (compile time only)
; SGPRBlocks: 0
; VGPRBlocks: 0
; NumSGPRsForWavesPerEU: 24
; NumVGPRsForWavesPerEU: 16
; NamedBarCnt: 0
; Occupancy: 16
; WaveLimiterHint : 0
; COMPUTE_PGM_RSRC2:SCRATCH_EN: 0
; COMPUTE_PGM_RSRC2:USER_SGPR: 2
; COMPUTE_PGM_RSRC2:TRAP_HANDLER: 0
; COMPUTE_PGM_RSRC2:TGID_X_EN: 1
; COMPUTE_PGM_RSRC2:TGID_Y_EN: 1
; COMPUTE_PGM_RSRC2:TGID_Z_EN: 1
; COMPUTE_PGM_RSRC2:TIDIG_COMP_CNT: 1
	.section	.text._ZL24rocblas_symm_hemm_kernelILb0ELb0ELi32E19rocblas_complex_numIfEPKS1_PS1_EvbiiT2_T3_lllS6_lllT4_llli,"axG",@progbits,_ZL24rocblas_symm_hemm_kernelILb0ELb0ELi32E19rocblas_complex_numIfEPKS1_PS1_EvbiiT2_T3_lllS6_lllT4_llli,comdat
	.globl	_ZL24rocblas_symm_hemm_kernelILb0ELb0ELi32E19rocblas_complex_numIfEPKS1_PS1_EvbiiT2_T3_lllS6_lllT4_llli ; -- Begin function _ZL24rocblas_symm_hemm_kernelILb0ELb0ELi32E19rocblas_complex_numIfEPKS1_PS1_EvbiiT2_T3_lllS6_lllT4_llli
	.p2align	8
	.type	_ZL24rocblas_symm_hemm_kernelILb0ELb0ELi32E19rocblas_complex_numIfEPKS1_PS1_EvbiiT2_T3_lllS6_lllT4_llli,@function
_ZL24rocblas_symm_hemm_kernelILb0ELb0ELi32E19rocblas_complex_numIfEPKS1_PS1_EvbiiT2_T3_lllS6_lllT4_llli: ; @_ZL24rocblas_symm_hemm_kernelILb0ELb0ELi32E19rocblas_complex_numIfEPKS1_PS1_EvbiiT2_T3_lllS6_lllT4_llli
; %bb.0:
	s_clause 0x1
	s_load_b128 s[28:31], s[0:1], 0x0
	s_load_b32 s35, s[0:1], 0x10
	s_wait_kmcnt 0x0
	s_cmp_eq_f32 s31, 0
	s_cselect_b32 s2, -1, 0
	s_cmp_eq_f32 s35, 0
	s_cselect_b32 s3, -1, 0
	s_delay_alu instid0(SALU_CYCLE_1) | instskip(NEXT) | instid1(SALU_CYCLE_1)
	s_and_b32 s2, s2, s3
	s_and_b32 vcc_lo, exec_lo, s2
	s_cbranch_vccnz .LBB16_16
; %bb.1:
	s_load_b32 s33, s[0:1], 0x78
	s_bfe_u32 s2, ttmp6, 0x40014
	s_lshr_b32 s4, ttmp7, 16
	s_add_co_i32 s2, s2, 1
	s_bfe_u32 s5, ttmp6, 0x40008
	s_mul_i32 s2, s4, s2
	s_getreg_b32 s3, hwreg(HW_REG_IB_STS2, 6, 4)
	s_add_co_i32 s5, s5, s2
	s_cmp_eq_u32 s3, 0
	s_cselect_b32 s36, s4, s5
	s_wait_kmcnt 0x0
	s_cmp_ge_u32 s36, s33
	s_cbranch_scc1 .LBB16_16
; %bb.2:
	s_clause 0x1
	s_load_b512 s[4:19], s[0:1], 0x18
	s_load_b256 s[20:27], s[0:1], 0x58
	v_and_b32_e32 v18, 0x3ff, v0
	v_bfe_u32 v19, v0, 10, 10
	s_mov_b32 s34, s31
	s_mov_b32 s37, 0
	s_delay_alu instid0(VALU_DEP_1) | instskip(NEXT) | instid1(VALU_DEP_1)
	v_dual_lshlrev_b32 v20, 8, v18 :: v_dual_lshlrev_b32 v0, 3, v19
	v_add_nc_u32_e32 v21, v20, v0
	v_or_b32_e32 v22, 0x2000, v0
	s_delay_alu instid0(VALU_DEP_1)
	v_add_nc_u32_e32 v23, v22, v20
	s_wait_kmcnt 0x0
	s_lshl_b64 s[6:7], s[6:7], 3
	s_lshl_b64 s[14:15], s[14:15], 3
	s_bitcmp1_b32 s28, 0
	s_add_nc_u64 s[4:5], s[4:5], s[6:7]
	s_cselect_b32 s2, -1, 0
	s_add_co_i32 s28, s30, -1
	s_bfe_u32 s39, ttmp6, 0x4000c
	s_bfe_u32 s41, ttmp6, 0x40010
	s_ashr_i32 s43, s28, 31
	s_and_b32 s40, ttmp7, 0xffff
	s_add_co_i32 s39, s39, 1
	s_add_co_i32 s41, s41, 1
	s_lshr_b32 s43, s43, 27
	s_and_b32 s38, ttmp6, 15
	s_bfe_u32 s42, ttmp6, 0x40004
	s_mul_i32 s39, ttmp9, s39
	s_mul_i32 s41, s40, s41
	s_add_co_i32 s28, s28, s43
	s_lshl_b64 s[22:23], s[22:23], 3
	s_add_co_i32 s38, s38, s39
	s_add_co_i32 s42, s42, s41
	s_ashr_i32 s28, s28, 5
	s_cmp_eq_u32 s3, 0
	s_add_nc_u64 s[6:7], s[12:13], s[14:15]
	s_cselect_b32 s3, ttmp9, s38
	s_cselect_b32 s38, s40, s42
	v_lshl_add_u32 v0, s3, 5, v18
	s_add_nc_u64 s[12:13], s[20:21], s[22:23]
	s_cmp_le_i32 s38, s28
	v_add_nc_u32_e32 v24, 0x1000, v22
	v_add_nc_u32_e32 v25, 0x1800, v22
	v_ashrrev_i32_e32 v1, 31, v0
	v_cmp_gt_i32_e64 s3, s29, v0
	s_cselect_b32 s39, -1, 0
	s_cmp_gt_i32 s29, 0
	s_mov_b32 s14, s35
	v_lshl_add_u64 v[2:3], v[0:1], 3, s[12:13]
	v_add_nc_u32_e32 v1, 0x800, v22
	s_cselect_b32 s40, -1, 0
	s_add_nc_u64 s[12:13], s[0:1], 0x80
	s_mov_b32 s15, s31
	s_branch .LBB16_4
.LBB16_3:                               ;   in Loop: Header=BB16_4 Depth=1
	s_add_co_i32 s36, s36, 0x10000
	s_delay_alu instid0(SALU_CYCLE_1)
	s_cmp_lt_u32 s36, s33
	s_cbranch_scc0 .LBB16_16
.LBB16_4:                               ; =>This Loop Header: Depth=1
                                        ;     Child Loop BB16_7 Depth 2
                                        ;       Child Loop BB16_10 Depth 3
	s_and_not1_b32 vcc_lo, exec_lo, s39
	s_cbranch_vccnz .LBB16_3
; %bb.5:                                ;   in Loop: Header=BB16_4 Depth=1
	s_load_b32 s1, s[12:13], 0x4
	s_mul_u64 s[42:43], s[26:27], s[36:37]
	s_mul_u64 s[20:21], s[10:11], s[36:37]
	;; [unrolled: 1-line block ×3, first 2 shown]
	v_lshl_add_u64 v[4:5], s[42:43], 3, v[2:3]
	s_lshl_b64 s[20:21], s[20:21], 3
	s_lshl_b64 s[22:23], s[22:23], 3
	s_add_nc_u64 s[20:21], s[4:5], s[20:21]
	s_add_nc_u64 s[22:23], s[6:7], s[22:23]
	s_mov_b32 s31, s38
	s_branch .LBB16_7
.LBB16_6:                               ;   in Loop: Header=BB16_7 Depth=2
	s_wait_kmcnt 0x0
	s_add_co_i32 s31, s31, s1
	s_delay_alu instid0(SALU_CYCLE_1)
	s_cmp_gt_i32 s31, s28
	s_cbranch_scc1 .LBB16_3
.LBB16_7:                               ;   Parent Loop BB16_4 Depth=1
                                        ; =>  This Loop Header: Depth=2
                                        ;       Child Loop BB16_10 Depth 3
	s_and_not1_b32 vcc_lo, exec_lo, s40
	s_cbranch_vccnz .LBB16_6
; %bb.8:                                ;   in Loop: Header=BB16_7 Depth=2
	v_lshl_add_u32 v6, s31, 5, v19
	s_mov_b32 s42, 0
	s_delay_alu instid0(VALU_DEP_1) | instskip(SKIP_1) | instid1(VALU_DEP_2)
	v_ashrrev_i32_e32 v7, 31, v6
	v_cmp_gt_i32_e32 vcc_lo, s30, v6
	v_mul_u64_e32 v[8:9], s[16:17], v[6:7]
	v_mul_u64_e32 v[10:11], s[24:25], v[6:7]
	s_and_b32 s41, s3, vcc_lo
	s_delay_alu instid0(VALU_DEP_2) | instskip(NEXT) | instid1(VALU_DEP_2)
	v_lshl_add_u64 v[6:7], v[8:9], 3, s[22:23]
	v_lshl_add_u64 v[8:9], v[10:11], 3, v[4:5]
	s_branch .LBB16_10
.LBB16_9:                               ;   in Loop: Header=BB16_10 Depth=3
	s_wait_xcnt 0x0
	s_or_b32 exec_lo, exec_lo, s0
	s_add_co_i32 s42, s42, 32
	s_wait_storecnt 0x0
	s_cmp_ge_i32 s42, s29
	s_barrier_signal -1
	s_barrier_wait -1
	s_cbranch_scc1 .LBB16_6
.LBB16_10:                              ;   Parent Loop BB16_4 Depth=1
                                        ;     Parent Loop BB16_7 Depth=2
                                        ; =>    This Inner Loop Header: Depth=3
	v_dual_mov_b32 v13, 0 :: v_dual_add_nc_u32 v10, s42, v19
	s_mov_b32 s43, exec_lo
	s_delay_alu instid0(VALU_DEP_1) | instskip(NEXT) | instid1(VALU_DEP_1)
	v_dual_cndmask_b32 v11, v10, v0, s2 :: v_dual_cndmask_b32 v12, v0, v10, s2
	v_cmp_gt_i32_e64 s0, v11, v12
	s_delay_alu instid0(VALU_DEP_1) | instskip(SKIP_1) | instid1(VALU_DEP_1)
	v_dual_mov_b32 v12, 0 :: v_dual_cndmask_b32 v14, v0, v10, s0
	v_dual_cndmask_b32 v16, v10, v0, s0 :: v_dual_mov_b32 v10, 0
	v_max_i32_e32 v11, v14, v16
	s_delay_alu instid0(VALU_DEP_1)
	v_cmpx_gt_i32_e64 s29, v11
	s_cbranch_execz .LBB16_12
; %bb.11:                               ;   in Loop: Header=BB16_10 Depth=3
	v_dual_ashrrev_i32 v17, 31, v16 :: v_dual_ashrrev_i32 v15, 31, v14
	s_delay_alu instid0(VALU_DEP_1) | instskip(NEXT) | instid1(VALU_DEP_1)
	v_mul_u64_e32 v[12:13], s[8:9], v[16:17]
	v_lshl_add_u64 v[12:13], v[12:13], 3, s[20:21]
	s_delay_alu instid0(VALU_DEP_1)
	v_lshl_add_u64 v[12:13], v[14:15], 3, v[12:13]
	global_load_b64 v[12:13], v[12:13], off
.LBB16_12:                              ;   in Loop: Header=BB16_10 Depth=3
	s_wait_xcnt 0x0
	s_or_b32 exec_lo, exec_lo, s43
	v_dual_mov_b32 v11, 0 :: v_dual_add_nc_u32 v14, s42, v18
	s_wait_loadcnt 0x0
	ds_store_b64 v21, v[12:13]
	v_cmp_gt_i32_e64 s0, s29, v14
	s_and_b32 s43, s0, vcc_lo
	s_delay_alu instid0(SALU_CYCLE_1)
	s_and_saveexec_b32 s0, s43
	s_cbranch_execz .LBB16_14
; %bb.13:                               ;   in Loop: Header=BB16_10 Depth=3
	v_ashrrev_i32_e32 v15, 31, v14
	s_delay_alu instid0(VALU_DEP_1)
	v_lshl_add_u64 v[10:11], v[14:15], 3, v[6:7]
	global_load_b64 v[10:11], v[10:11], off
.LBB16_14:                              ;   in Loop: Header=BB16_10 Depth=3
	s_wait_xcnt 0x0
	s_or_b32 exec_lo, exec_lo, s0
	s_wait_loadcnt 0x0
	ds_store_b64 v23, v[10:11]
	s_wait_dscnt 0x0
	s_barrier_signal -1
	s_barrier_wait -1
	s_and_saveexec_b32 s0, s41
	s_cbranch_execz .LBB16_9
; %bb.15:                               ;   in Loop: Header=BB16_10 Depth=3
	global_load_b64 v[10:11], v[8:9], off
	ds_load_2addr_b64 v[12:15], v22 offset1:32
	ds_load_b128 v[26:29], v20
	ds_load_b128 v[30:33], v20 offset:16
	ds_load_2addr_b64 v[34:37], v22 offset0:64 offset1:96
	ds_load_b128 v[38:41], v20 offset:32
	ds_load_2addr_b64 v[42:45], v22 offset0:128 offset1:160
	s_wait_dscnt 0x4
	v_dual_mul_f32 v16, v13, v27 :: v_dual_mul_f32 v17, v12, v27
	s_delay_alu instid0(VALU_DEP_1) | instskip(SKIP_2) | instid1(VALU_DEP_2)
	v_dual_fma_f32 v12, v12, v26, -v16 :: v_dual_fmac_f32 v17, v13, v26
	v_dual_mul_f32 v13, v15, v29 :: v_dual_mul_f32 v16, v14, v29
	s_wait_dscnt 0x2
	v_dual_mul_f32 v29, v35, v31 :: v_dual_add_f32 v26, 0, v12
	s_delay_alu instid0(VALU_DEP_2) | instskip(NEXT) | instid1(VALU_DEP_3)
	v_dual_add_f32 v17, 0, v17 :: v_dual_fma_f32 v27, v14, v28, -v13
	v_dual_fmac_f32 v16, v15, v28 :: v_dual_mul_f32 v31, v34, v31
	ds_load_b128 v[12:15], v20 offset:48
	v_dual_add_f32 v26, v26, v27 :: v_dual_add_f32 v16, v17, v16
	v_dual_fma_f32 v27, v34, v30, -v29 :: v_dual_fmac_f32 v31, v35, v30
	v_dual_mul_f32 v17, v37, v33 :: v_dual_mul_f32 v30, v36, v33
	s_delay_alu instid0(VALU_DEP_2) | instskip(SKIP_4) | instid1(VALU_DEP_2)
	v_add_f32_e32 v33, v26, v27
	ds_load_2addr_b64 v[26:29], v22 offset0:192 offset1:224
	v_dual_add_f32 v16, v16, v31 :: v_dual_fmac_f32 v30, v37, v32
	s_wait_dscnt 0x2
	v_dual_fma_f32 v17, v36, v32, -v17 :: v_dual_mul_f32 v31, v43, v39
	v_dual_mul_f32 v39, v42, v39 :: v_dual_add_f32 v16, v16, v30
	s_delay_alu instid0(VALU_DEP_2) | instskip(SKIP_4) | instid1(VALU_DEP_2)
	v_dual_add_f32 v17, v33, v17 :: v_dual_fma_f32 v42, v42, v38, -v31
	ds_load_b128 v[30:33], v20 offset:64
	ds_load_2addr_b64 v[34:37], v1 offset1:32
	v_dual_fmac_f32 v39, v43, v38 :: v_dual_mul_f32 v38, v45, v41
	v_dual_mul_f32 v41, v44, v41 :: v_dual_add_f32 v17, v17, v42
	v_add_f32_e32 v16, v16, v39
	s_delay_alu instid0(VALU_DEP_2) | instskip(SKIP_2) | instid1(VALU_DEP_2)
	v_dual_fma_f32 v38, v44, v40, -v38 :: v_dual_fmac_f32 v41, v45, v40
	s_wait_dscnt 0x2
	v_dual_mul_f32 v39, v27, v13 :: v_dual_mul_f32 v13, v26, v13
	v_dual_add_f32 v17, v17, v38 :: v_dual_add_f32 v16, v16, v41
	s_delay_alu instid0(VALU_DEP_2)
	v_dual_fma_f32 v26, v26, v12, -v39 :: v_dual_fmac_f32 v13, v27, v12
	v_dual_mul_f32 v12, v29, v15 :: v_dual_mul_f32 v15, v28, v15
	ds_load_b128 v[38:41], v20 offset:80
	ds_load_2addr_b64 v[42:45], v1 offset0:64 offset1:96
	s_wait_dscnt 0x2
	v_dual_add_f32 v17, v17, v26 :: v_dual_mul_f32 v26, v35, v31
	v_dual_fma_f32 v12, v28, v14, -v12 :: v_dual_fmac_f32 v15, v29, v14
	v_dual_add_f32 v13, v16, v13 :: v_dual_mul_f32 v16, v34, v31
	s_delay_alu instid0(VALU_DEP_2) | instskip(NEXT) | instid1(VALU_DEP_2)
	v_dual_fma_f32 v14, v34, v30, -v26 :: v_dual_add_f32 v12, v17, v12
	v_dual_add_f32 v17, v13, v15 :: v_dual_fmac_f32 v16, v35, v30
	s_delay_alu instid0(VALU_DEP_2)
	v_dual_mul_f32 v30, v37, v33 :: v_dual_add_f32 v31, v12, v14
	ds_load_b128 v[12:15], v20 offset:96
	ds_load_2addr_b64 v[26:29], v1 offset0:128 offset1:160
	v_dual_mul_f32 v33, v36, v33 :: v_dual_add_f32 v16, v17, v16
	s_wait_dscnt 0x2
	v_dual_fma_f32 v30, v36, v32, -v30 :: v_dual_mul_f32 v34, v43, v39
	s_delay_alu instid0(VALU_DEP_1) | instskip(NEXT) | instid1(VALU_DEP_2)
	v_dual_fmac_f32 v33, v37, v32 :: v_dual_add_f32 v17, v31, v30
	v_dual_mul_f32 v39, v42, v39 :: v_dual_fma_f32 v30, v42, v38, -v34
	v_mul_f32_e32 v31, v45, v41
	s_delay_alu instid0(VALU_DEP_2) | instskip(NEXT) | instid1(VALU_DEP_3)
	v_dual_add_f32 v16, v16, v33 :: v_dual_fmac_f32 v39, v43, v38
	v_dual_mul_f32 v41, v44, v41 :: v_dual_add_f32 v17, v17, v30
	s_delay_alu instid0(VALU_DEP_3)
	v_fma_f32 v38, v44, v40, -v31
	ds_load_b128 v[30:33], v20 offset:112
	ds_load_2addr_b64 v[34:37], v1 offset0:192 offset1:224
	s_wait_dscnt 0x2
	v_dual_add_f32 v16, v16, v39 :: v_dual_mul_f32 v42, v27, v13
	v_dual_fmac_f32 v41, v45, v40 :: v_dual_mul_f32 v13, v26, v13
	s_delay_alu instid0(VALU_DEP_2) | instskip(NEXT) | instid1(VALU_DEP_2)
	v_dual_add_f32 v17, v17, v38 :: v_dual_fma_f32 v26, v26, v12, -v42
	v_dual_add_f32 v16, v16, v41 :: v_dual_fmac_f32 v13, v27, v12
	ds_load_b128 v[38:41], v20 offset:128
	ds_load_2addr_b64 v[42:45], v24 offset1:32
	v_add_f32_e32 v12, v17, v26
	v_dual_mul_f32 v17, v29, v15 :: v_dual_add_f32 v13, v16, v13
	s_delay_alu instid0(VALU_DEP_1) | instskip(SKIP_1) | instid1(VALU_DEP_1)
	v_dual_mul_f32 v15, v28, v15 :: v_dual_fma_f32 v16, v28, v14, -v17
	s_wait_dscnt 0x2
	v_dual_fmac_f32 v15, v29, v14 :: v_dual_mul_f32 v14, v35, v31
	s_delay_alu instid0(VALU_DEP_2) | instskip(NEXT) | instid1(VALU_DEP_2)
	v_dual_mul_f32 v17, v34, v31 :: v_dual_add_f32 v16, v12, v16
	v_dual_add_f32 v31, v13, v15 :: v_dual_fma_f32 v34, v34, v30, -v14
	s_delay_alu instid0(VALU_DEP_2)
	v_dual_fmac_f32 v17, v35, v30 :: v_dual_mul_f32 v30, v37, v33
	v_mul_f32_e32 v33, v36, v33
	ds_load_b128 v[12:15], v20 offset:144
	ds_load_2addr_b64 v[26:29], v24 offset0:64 offset1:96
	v_dual_add_f32 v16, v16, v34 :: v_dual_add_f32 v17, v31, v17
	v_dual_fma_f32 v30, v36, v32, -v30 :: v_dual_fmac_f32 v33, v37, v32
	s_wait_dscnt 0x2
	v_dual_mul_f32 v31, v43, v39 :: v_dual_mul_f32 v39, v42, v39
	s_delay_alu instid0(VALU_DEP_2) | instskip(NEXT) | instid1(VALU_DEP_2)
	v_dual_add_f32 v16, v16, v30 :: v_dual_add_f32 v17, v17, v33
	v_fma_f32 v42, v42, v38, -v31
	ds_load_b128 v[30:33], v20 offset:160
	ds_load_2addr_b64 v[34:37], v24 offset0:128 offset1:160
	v_dual_fmac_f32 v39, v43, v38 :: v_dual_mul_f32 v38, v45, v41
	v_mul_f32_e32 v41, v44, v41
	s_delay_alu instid0(VALU_DEP_2) | instskip(NEXT) | instid1(VALU_DEP_2)
	v_dual_add_f32 v16, v16, v42 :: v_dual_add_f32 v17, v17, v39
	v_dual_fma_f32 v38, v44, v40, -v38 :: v_dual_fmac_f32 v41, v45, v40
	s_wait_dscnt 0x2
	v_dual_mul_f32 v42, v27, v13 :: v_dual_mul_f32 v13, v26, v13
	s_delay_alu instid0(VALU_DEP_2) | instskip(NEXT) | instid1(VALU_DEP_2)
	v_dual_add_f32 v16, v16, v38 :: v_dual_add_f32 v17, v17, v41
	v_dual_fma_f32 v26, v26, v12, -v42 :: v_dual_fmac_f32 v13, v27, v12
	v_mul_f32_e32 v12, v29, v15
	ds_load_b128 v[38:41], v20 offset:176
	ds_load_2addr_b64 v[42:45], v24 offset0:192 offset1:224
	v_add_f32_e32 v16, v16, v26
	v_dual_mul_f32 v15, v28, v15 :: v_dual_fma_f32 v12, v28, v14, -v12
	s_wait_dscnt 0x2
	v_dual_mul_f32 v26, v35, v31 :: v_dual_add_f32 v13, v17, v13
	s_delay_alu instid0(VALU_DEP_2) | instskip(NEXT) | instid1(VALU_DEP_2)
	v_dual_fmac_f32 v15, v29, v14 :: v_dual_add_f32 v12, v16, v12
	v_dual_mul_f32 v16, v34, v31 :: v_dual_fma_f32 v14, v34, v30, -v26
	v_mul_f32_e32 v17, v37, v33
	s_delay_alu instid0(VALU_DEP_3) | instskip(NEXT) | instid1(VALU_DEP_3)
	v_dual_add_f32 v31, v13, v15 :: v_dual_mul_f32 v33, v36, v33
	v_fmac_f32_e32 v16, v35, v30
	s_delay_alu instid0(VALU_DEP_4)
	v_add_f32_e32 v30, v12, v14
	ds_load_b128 v[12:15], v20 offset:192
	ds_load_2addr_b64 v[26:29], v25 offset1:32
	v_fma_f32 v17, v36, v32, -v17
	s_wait_dscnt 0x2
	v_dual_fmac_f32 v33, v37, v32 :: v_dual_mul_f32 v34, v43, v39
	v_dual_add_f32 v16, v31, v16 :: v_dual_mul_f32 v39, v42, v39
	s_delay_alu instid0(VALU_DEP_3) | instskip(NEXT) | instid1(VALU_DEP_2)
	v_add_f32_e32 v17, v30, v17
	v_dual_fma_f32 v30, v42, v38, -v34 :: v_dual_add_f32 v16, v16, v33
	s_delay_alu instid0(VALU_DEP_3) | instskip(NEXT) | instid1(VALU_DEP_2)
	v_dual_fmac_f32 v39, v43, v38 :: v_dual_mul_f32 v38, v45, v41
	v_dual_mul_f32 v41, v44, v41 :: v_dual_add_f32 v17, v17, v30
	ds_load_b128 v[30:33], v20 offset:208
	ds_load_2addr_b64 v[34:37], v25 offset0:64 offset1:96
	v_add_f32_e32 v16, v16, v39
	v_dual_fma_f32 v38, v44, v40, -v38 :: v_dual_fmac_f32 v41, v45, v40
	s_wait_dscnt 0x2
	v_dual_mul_f32 v39, v27, v13 :: v_dual_mul_f32 v13, v26, v13
	s_delay_alu instid0(VALU_DEP_2) | instskip(NEXT) | instid1(VALU_DEP_2)
	v_dual_add_f32 v17, v17, v38 :: v_dual_add_f32 v16, v16, v41
	v_dual_fma_f32 v26, v26, v12, -v39 :: v_dual_fmac_f32 v13, v27, v12
	v_dual_mul_f32 v12, v29, v15 :: v_dual_mul_f32 v15, v28, v15
	ds_load_b128 v[38:41], v20 offset:224
	ds_load_2addr_b64 v[42:45], v25 offset0:128 offset1:160
	v_dual_add_f32 v17, v17, v26 :: v_dual_add_f32 v13, v16, v13
	v_dual_fma_f32 v12, v28, v14, -v12 :: v_dual_fmac_f32 v15, v29, v14
	s_wait_dscnt 0x2
	v_dual_mul_f32 v16, v34, v31 :: v_dual_mul_f32 v31, v35, v31
	s_delay_alu instid0(VALU_DEP_2) | instskip(NEXT) | instid1(VALU_DEP_2)
	v_add_f32_e32 v17, v17, v12
	v_dual_add_f32 v46, v13, v15 :: v_dual_fmac_f32 v16, v35, v30
	ds_load_b128 v[12:15], v20 offset:240
	ds_load_2addr_b64 v[26:29], v25 offset0:192 offset1:224
	v_dual_mul_f32 v35, v36, v33 :: v_dual_fma_f32 v30, v34, v30, -v31
	v_dual_mul_f32 v31, v37, v33 :: v_dual_add_f32 v16, v46, v16
	s_delay_alu instid0(VALU_DEP_2) | instskip(NEXT) | instid1(VALU_DEP_2)
	v_fmac_f32_e32 v35, v37, v32
	v_dual_add_f32 v17, v17, v30 :: v_dual_fma_f32 v30, v36, v32, -v31
	s_wait_dscnt 0x2
	v_dual_mul_f32 v31, v43, v39 :: v_dual_mul_f32 v33, v42, v39
	s_delay_alu instid0(VALU_DEP_3) | instskip(NEXT) | instid1(VALU_DEP_3)
	v_add_f32_e32 v16, v16, v35
	v_dual_mul_f32 v32, v44, v41 :: v_dual_add_f32 v17, v17, v30
	s_delay_alu instid0(VALU_DEP_3) | instskip(NEXT) | instid1(VALU_DEP_2)
	v_dual_fmac_f32 v33, v43, v38 :: v_dual_fma_f32 v30, v42, v38, -v31
	v_dual_mul_f32 v31, v45, v41 :: v_dual_fmac_f32 v32, v45, v40
	s_delay_alu instid0(VALU_DEP_2) | instskip(SKIP_1) | instid1(VALU_DEP_3)
	v_add_f32_e32 v16, v16, v33
	s_wait_dscnt 0x0
	v_dual_mul_f32 v33, v26, v13 :: v_dual_add_f32 v17, v17, v30
	s_delay_alu instid0(VALU_DEP_3) | instskip(NEXT) | instid1(VALU_DEP_3)
	v_dual_fma_f32 v30, v44, v40, -v31 :: v_dual_mul_f32 v13, v27, v13
	v_add_f32_e32 v16, v16, v32
	s_delay_alu instid0(VALU_DEP_3) | instskip(NEXT) | instid1(VALU_DEP_3)
	v_dual_fmac_f32 v33, v27, v12 :: v_dual_mul_f32 v27, v28, v15
	v_dual_add_f32 v17, v17, v30 :: v_dual_fma_f32 v12, v26, v12, -v13
	s_delay_alu instid0(VALU_DEP_2) | instskip(NEXT) | instid1(VALU_DEP_3)
	v_dual_mul_f32 v15, v29, v15 :: v_dual_add_f32 v13, v16, v33
	v_fmac_f32_e32 v27, v29, v14
	s_delay_alu instid0(VALU_DEP_2) | instskip(SKIP_1) | instid1(VALU_DEP_2)
	v_dual_add_f32 v16, v17, v12 :: v_dual_fma_f32 v17, v28, v14, -v15
	v_mov_b64_e32 v[14:15], s[14:15]
	v_dual_add_f32 v12, v13, v27 :: v_dual_add_f32 v16, v16, v17
	s_delay_alu instid0(VALU_DEP_1) | instskip(SKIP_1) | instid1(VALU_DEP_1)
	v_pk_mul_f32 v[12:13], v[14:15], v[12:13] op_sel_hi:[1,0]
	v_mov_b64_e32 v[14:15], s[34:35]
	v_pk_fma_f32 v[26:27], v[14:15], v[16:17], v[12:13] op_sel_hi:[1,0,1]
	v_pk_fma_f32 v[12:13], v[14:15], v[16:17], v[12:13] neg_lo:[0,0,1] neg_hi:[0,0,1]
	s_delay_alu instid0(VALU_DEP_2) | instskip(SKIP_1) | instid1(VALU_DEP_1)
	v_mov_b32_e32 v13, v27
	s_wait_loadcnt 0x0
	v_pk_add_f32 v[10:11], v[10:11], v[12:13]
	global_store_b64 v[8:9], v[10:11], off
	s_branch .LBB16_9
.LBB16_16:
	s_endpgm
	.section	.rodata,"a",@progbits
	.p2align	6, 0x0
	.amdhsa_kernel _ZL24rocblas_symm_hemm_kernelILb0ELb0ELi32E19rocblas_complex_numIfEPKS1_PS1_EvbiiT2_T3_lllS6_lllT4_llli
		.amdhsa_group_segment_fixed_size 16384
		.amdhsa_private_segment_fixed_size 0
		.amdhsa_kernarg_size 384
		.amdhsa_user_sgpr_count 2
		.amdhsa_user_sgpr_dispatch_ptr 0
		.amdhsa_user_sgpr_queue_ptr 0
		.amdhsa_user_sgpr_kernarg_segment_ptr 1
		.amdhsa_user_sgpr_dispatch_id 0
		.amdhsa_user_sgpr_kernarg_preload_length 0
		.amdhsa_user_sgpr_kernarg_preload_offset 0
		.amdhsa_user_sgpr_private_segment_size 0
		.amdhsa_wavefront_size32 1
		.amdhsa_uses_dynamic_stack 0
		.amdhsa_enable_private_segment 0
		.amdhsa_system_sgpr_workgroup_id_x 1
		.amdhsa_system_sgpr_workgroup_id_y 1
		.amdhsa_system_sgpr_workgroup_id_z 1
		.amdhsa_system_sgpr_workgroup_info 0
		.amdhsa_system_vgpr_workitem_id 1
		.amdhsa_next_free_vgpr 47
		.amdhsa_next_free_sgpr 44
		.amdhsa_named_barrier_count 0
		.amdhsa_reserve_vcc 1
		.amdhsa_float_round_mode_32 0
		.amdhsa_float_round_mode_16_64 0
		.amdhsa_float_denorm_mode_32 3
		.amdhsa_float_denorm_mode_16_64 3
		.amdhsa_fp16_overflow 0
		.amdhsa_memory_ordered 1
		.amdhsa_forward_progress 1
		.amdhsa_inst_pref_size 19
		.amdhsa_round_robin_scheduling 0
		.amdhsa_exception_fp_ieee_invalid_op 0
		.amdhsa_exception_fp_denorm_src 0
		.amdhsa_exception_fp_ieee_div_zero 0
		.amdhsa_exception_fp_ieee_overflow 0
		.amdhsa_exception_fp_ieee_underflow 0
		.amdhsa_exception_fp_ieee_inexact 0
		.amdhsa_exception_int_div_zero 0
	.end_amdhsa_kernel
	.section	.text._ZL24rocblas_symm_hemm_kernelILb0ELb0ELi32E19rocblas_complex_numIfEPKS1_PS1_EvbiiT2_T3_lllS6_lllT4_llli,"axG",@progbits,_ZL24rocblas_symm_hemm_kernelILb0ELb0ELi32E19rocblas_complex_numIfEPKS1_PS1_EvbiiT2_T3_lllS6_lllT4_llli,comdat
.Lfunc_end16:
	.size	_ZL24rocblas_symm_hemm_kernelILb0ELb0ELi32E19rocblas_complex_numIfEPKS1_PS1_EvbiiT2_T3_lllS6_lllT4_llli, .Lfunc_end16-_ZL24rocblas_symm_hemm_kernelILb0ELb0ELi32E19rocblas_complex_numIfEPKS1_PS1_EvbiiT2_T3_lllS6_lllT4_llli
                                        ; -- End function
	.set _ZL24rocblas_symm_hemm_kernelILb0ELb0ELi32E19rocblas_complex_numIfEPKS1_PS1_EvbiiT2_T3_lllS6_lllT4_llli.num_vgpr, 47
	.set _ZL24rocblas_symm_hemm_kernelILb0ELb0ELi32E19rocblas_complex_numIfEPKS1_PS1_EvbiiT2_T3_lllS6_lllT4_llli.num_agpr, 0
	.set _ZL24rocblas_symm_hemm_kernelILb0ELb0ELi32E19rocblas_complex_numIfEPKS1_PS1_EvbiiT2_T3_lllS6_lllT4_llli.numbered_sgpr, 44
	.set _ZL24rocblas_symm_hemm_kernelILb0ELb0ELi32E19rocblas_complex_numIfEPKS1_PS1_EvbiiT2_T3_lllS6_lllT4_llli.num_named_barrier, 0
	.set _ZL24rocblas_symm_hemm_kernelILb0ELb0ELi32E19rocblas_complex_numIfEPKS1_PS1_EvbiiT2_T3_lllS6_lllT4_llli.private_seg_size, 0
	.set _ZL24rocblas_symm_hemm_kernelILb0ELb0ELi32E19rocblas_complex_numIfEPKS1_PS1_EvbiiT2_T3_lllS6_lllT4_llli.uses_vcc, 1
	.set _ZL24rocblas_symm_hemm_kernelILb0ELb0ELi32E19rocblas_complex_numIfEPKS1_PS1_EvbiiT2_T3_lllS6_lllT4_llli.uses_flat_scratch, 0
	.set _ZL24rocblas_symm_hemm_kernelILb0ELb0ELi32E19rocblas_complex_numIfEPKS1_PS1_EvbiiT2_T3_lllS6_lllT4_llli.has_dyn_sized_stack, 0
	.set _ZL24rocblas_symm_hemm_kernelILb0ELb0ELi32E19rocblas_complex_numIfEPKS1_PS1_EvbiiT2_T3_lllS6_lllT4_llli.has_recursion, 0
	.set _ZL24rocblas_symm_hemm_kernelILb0ELb0ELi32E19rocblas_complex_numIfEPKS1_PS1_EvbiiT2_T3_lllS6_lllT4_llli.has_indirect_call, 0
	.section	.AMDGPU.csdata,"",@progbits
; Kernel info:
; codeLenInByte = 2388
; TotalNumSgprs: 46
; NumVgprs: 47
; ScratchSize: 0
; MemoryBound: 0
; FloatMode: 240
; IeeeMode: 1
; LDSByteSize: 16384 bytes/workgroup (compile time only)
; SGPRBlocks: 0
; VGPRBlocks: 2
; NumSGPRsForWavesPerEU: 46
; NumVGPRsForWavesPerEU: 47
; NamedBarCnt: 0
; Occupancy: 16
; WaveLimiterHint : 0
; COMPUTE_PGM_RSRC2:SCRATCH_EN: 0
; COMPUTE_PGM_RSRC2:USER_SGPR: 2
; COMPUTE_PGM_RSRC2:TRAP_HANDLER: 0
; COMPUTE_PGM_RSRC2:TGID_X_EN: 1
; COMPUTE_PGM_RSRC2:TGID_Y_EN: 1
; COMPUTE_PGM_RSRC2:TGID_Z_EN: 1
; COMPUTE_PGM_RSRC2:TIDIG_COMP_CNT: 1
	.section	.text._ZL24rocblas_symm_hemm_kernelILb0ELb1ELi32E19rocblas_complex_numIfEPKS1_PS1_EvbiiT2_T3_lllS6_lllT4_llli,"axG",@progbits,_ZL24rocblas_symm_hemm_kernelILb0ELb1ELi32E19rocblas_complex_numIfEPKS1_PS1_EvbiiT2_T3_lllS6_lllT4_llli,comdat
	.globl	_ZL24rocblas_symm_hemm_kernelILb0ELb1ELi32E19rocblas_complex_numIfEPKS1_PS1_EvbiiT2_T3_lllS6_lllT4_llli ; -- Begin function _ZL24rocblas_symm_hemm_kernelILb0ELb1ELi32E19rocblas_complex_numIfEPKS1_PS1_EvbiiT2_T3_lllS6_lllT4_llli
	.p2align	8
	.type	_ZL24rocblas_symm_hemm_kernelILb0ELb1ELi32E19rocblas_complex_numIfEPKS1_PS1_EvbiiT2_T3_lllS6_lllT4_llli,@function
_ZL24rocblas_symm_hemm_kernelILb0ELb1ELi32E19rocblas_complex_numIfEPKS1_PS1_EvbiiT2_T3_lllS6_lllT4_llli: ; @_ZL24rocblas_symm_hemm_kernelILb0ELb1ELi32E19rocblas_complex_numIfEPKS1_PS1_EvbiiT2_T3_lllS6_lllT4_llli
; %bb.0:
	s_clause 0x1
	s_load_b128 s[28:31], s[0:1], 0x0
	s_load_b32 s35, s[0:1], 0x10
	s_wait_kmcnt 0x0
	s_cmp_eq_f32 s31, 0
	s_cselect_b32 s2, -1, 0
	s_cmp_eq_f32 s35, 0
	s_cselect_b32 s3, -1, 0
	s_delay_alu instid0(SALU_CYCLE_1) | instskip(NEXT) | instid1(SALU_CYCLE_1)
	s_and_b32 s2, s2, s3
	s_and_b32 vcc_lo, exec_lo, s2
	s_cbranch_vccnz .LBB17_16
; %bb.1:
	s_load_b32 s33, s[0:1], 0x78
	s_bfe_u32 s2, ttmp6, 0x40014
	s_lshr_b32 s4, ttmp7, 16
	s_add_co_i32 s2, s2, 1
	s_bfe_u32 s5, ttmp6, 0x40008
	s_mul_i32 s2, s4, s2
	s_getreg_b32 s3, hwreg(HW_REG_IB_STS2, 6, 4)
	s_add_co_i32 s5, s5, s2
	s_cmp_eq_u32 s3, 0
	s_cselect_b32 s36, s4, s5
	s_wait_kmcnt 0x0
	s_cmp_ge_u32 s36, s33
	s_cbranch_scc1 .LBB17_16
; %bb.2:
	s_clause 0x1
	s_load_b512 s[4:19], s[0:1], 0x18
	s_load_b256 s[20:27], s[0:1], 0x58
	v_and_b32_e32 v20, 0x3ff, v0
	v_bfe_u32 v21, v0, 10, 10
	s_wait_xcnt 0x0
	s_add_nc_u64 s[0:1], s[0:1], 0x80
	s_delay_alu instid0(VALU_DEP_1) | instskip(NEXT) | instid1(VALU_DEP_1)
	v_dual_lshlrev_b32 v22, 8, v20 :: v_dual_lshlrev_b32 v1, 3, v21
	v_or_b32_e32 v23, 0x2000, v1
	s_delay_alu instid0(VALU_DEP_1)
	v_dual_add_nc_u32 v24, v22, v1 :: v_dual_add_nc_u32 v25, v23, v22
	v_add_nc_u32_e32 v26, 0x800, v23
	s_wait_kmcnt 0x0
	s_lshl_b64 s[6:7], s[6:7], 3
	s_bitcmp1_b32 s28, 0
	s_add_nc_u64 s[4:5], s[4:5], s[6:7]
	s_cselect_b32 s2, -1, 0
	s_lshl_b64 s[38:39], s[14:15], 3
	s_add_co_i32 s14, s30, -1
	s_bfe_u32 s28, ttmp6, 0x4000c
	s_bfe_u32 s34, ttmp6, 0x40010
	s_ashr_i32 s41, s14, 31
	s_and_b32 s40, ttmp7, 0xffff
	s_add_co_i32 s28, s28, 1
	s_add_co_i32 s34, s34, 1
	s_lshr_b32 s41, s41, 27
	s_and_b32 s15, ttmp6, 15
	s_bfe_u32 s37, ttmp6, 0x40004
	s_mul_i32 s28, ttmp9, s28
	s_mul_i32 s34, s40, s34
	s_add_co_i32 s14, s14, s41
	s_lshl_b64 s[22:23], s[22:23], 3
	s_add_co_i32 s15, s15, s28
	s_add_co_i32 s28, s37, s34
	s_ashr_i32 s14, s14, 5
	s_cmp_eq_u32 s3, 0
	s_add_nc_u64 s[6:7], s[12:13], s[38:39]
	s_cselect_b32 s3, ttmp9, s15
	s_add_nc_u64 s[12:13], s[20:21], s[22:23]
	v_lshl_add_u32 v0, s3, 5, v20
	s_cselect_b32 s15, s40, s28
	v_add_nc_u32_e32 v27, 0x1000, v23
	s_cmp_le_i32 s15, s14
	v_add_nc_u32_e32 v28, 0x1800, v23
	v_ashrrev_i32_e32 v1, 31, v0
	v_cmp_gt_i32_e64 s3, s29, v0
	s_cselect_b32 s20, -1, 0
	s_cmp_gt_i32 s30, 0
	s_mov_b32 s34, s31
	v_lshlrev_b64_e32 v[2:3], 3, v[0:1]
	s_mov_b32 s37, 0
	s_cselect_b32 s21, -1, 0
	s_delay_alu instid0(VALU_DEP_1)
	v_add_nc_u64_e32 v[0:1], s[6:7], v[2:3]
	v_add_nc_u64_e32 v[2:3], s[12:13], v[2:3]
	s_mov_b32 s6, s35
	s_mov_b32 s7, s31
	s_branch .LBB17_4
.LBB17_3:                               ;   in Loop: Header=BB17_4 Depth=1
	s_add_co_i32 s36, s36, 0x10000
	s_delay_alu instid0(SALU_CYCLE_1)
	s_cmp_lt_u32 s36, s33
	s_cbranch_scc0 .LBB17_16
.LBB17_4:                               ; =>This Loop Header: Depth=1
                                        ;     Child Loop BB17_7 Depth 2
                                        ;       Child Loop BB17_10 Depth 3
	s_and_not1_b32 vcc_lo, exec_lo, s20
	s_cbranch_vccnz .LBB17_3
; %bb.5:                                ;   in Loop: Header=BB17_4 Depth=1
	s_load_b32 s22, s[0:1], 0x4
	s_mul_u64 s[28:29], s[18:19], s[36:37]
	s_mul_u64 s[38:39], s[26:27], s[36:37]
	;; [unrolled: 1-line block ×3, first 2 shown]
	v_lshl_add_u64 v[4:5], s[28:29], 3, v[0:1]
	v_lshl_add_u64 v[6:7], s[38:39], 3, v[2:3]
	s_lshl_b64 s[12:13], s[12:13], 3
	s_mov_b32 s23, s15
	s_add_nc_u64 s[12:13], s[4:5], s[12:13]
	s_branch .LBB17_7
.LBB17_6:                               ;   in Loop: Header=BB17_7 Depth=2
	s_wait_kmcnt 0x0
	s_add_co_i32 s23, s23, s22
	s_delay_alu instid0(SALU_CYCLE_1)
	s_cmp_gt_i32 s23, s14
	s_cbranch_scc1 .LBB17_3
.LBB17_7:                               ;   Parent Loop BB17_4 Depth=1
                                        ; =>  This Loop Header: Depth=2
                                        ;       Child Loop BB17_10 Depth 3
	s_and_not1_b32 vcc_lo, exec_lo, s21
	s_cbranch_vccnz .LBB17_6
; %bb.8:                                ;   in Loop: Header=BB17_7 Depth=2
	v_lshl_add_u32 v8, s23, 5, v21
	s_mov_b32 s29, 0
	s_delay_alu instid0(VALU_DEP_1) | instskip(SKIP_1) | instid1(VALU_DEP_2)
	v_ashrrev_i32_e32 v9, 31, v8
	v_cmp_gt_i32_e32 vcc_lo, s30, v8
	v_mul_u64_e32 v[10:11], s[24:25], v[8:9]
	s_and_b32 s28, s3, vcc_lo
	s_delay_alu instid0(VALU_DEP_1)
	v_lshl_add_u64 v[10:11], v[10:11], 3, v[6:7]
	s_branch .LBB17_10
.LBB17_9:                               ;   in Loop: Header=BB17_10 Depth=3
	s_wait_xcnt 0x0
	s_or_b32 exec_lo, exec_lo, s31
	s_add_co_i32 s29, s29, 32
	s_wait_storecnt 0x0
	s_cmp_ge_i32 s29, s30
	s_barrier_signal -1
	s_barrier_wait -1
	s_cbranch_scc1 .LBB17_6
.LBB17_10:                              ;   Parent Loop BB17_4 Depth=1
                                        ;     Parent Loop BB17_7 Depth=2
                                        ; =>    This Inner Loop Header: Depth=3
	v_dual_add_nc_u32 v16, s29, v21 :: v_dual_mov_b32 v12, 0
	v_dual_mov_b32 v14, 0 :: v_dual_mov_b32 v15, 0
	s_delay_alu instid0(VALU_DEP_2) | instskip(SKIP_1) | instid1(SALU_CYCLE_1)
	v_cmp_gt_i32_e32 vcc_lo, s30, v16
	s_and_b32 s38, s3, vcc_lo
	s_and_saveexec_b32 s31, s38
	s_cbranch_execz .LBB17_12
; %bb.11:                               ;   in Loop: Header=BB17_10 Depth=3
	v_ashrrev_i32_e32 v17, 31, v16
	s_delay_alu instid0(VALU_DEP_1) | instskip(NEXT) | instid1(VALU_DEP_1)
	v_mul_u64_e32 v[14:15], s[16:17], v[16:17]
	v_lshl_add_u64 v[14:15], v[14:15], 3, v[4:5]
	global_load_b64 v[14:15], v[14:15], off
.LBB17_12:                              ;   in Loop: Header=BB17_10 Depth=3
	s_wait_xcnt 0x0
	s_or_b32 exec_lo, exec_lo, s31
	v_add_nc_u32_e32 v9, s29, v20
	s_mov_b32 s31, exec_lo
	s_wait_loadcnt 0x0
	ds_store_b64 v24, v[14:15]
	v_dual_cndmask_b32 v13, v8, v9, s2 :: v_dual_cndmask_b32 v16, v9, v8, s2
	s_delay_alu instid0(VALU_DEP_1) | instskip(SKIP_2) | instid1(VALU_DEP_1)
	v_cmp_gt_i32_e32 vcc_lo, v13, v16
	v_dual_mov_b32 v13, 0 :: v_dual_cndmask_b32 v16, v9, v8
	v_cndmask_b32_e32 v18, v8, v9, vcc_lo
	v_max_i32_e32 v9, v16, v18
	s_delay_alu instid0(VALU_DEP_1)
	v_cmpx_gt_i32_e64 s30, v9
	s_cbranch_execz .LBB17_14
; %bb.13:                               ;   in Loop: Header=BB17_10 Depth=3
	v_dual_ashrrev_i32 v19, 31, v18 :: v_dual_ashrrev_i32 v17, 31, v16
	s_delay_alu instid0(VALU_DEP_1) | instskip(NEXT) | instid1(VALU_DEP_1)
	v_mul_u64_e32 v[12:13], s[8:9], v[18:19]
	v_lshl_add_u64 v[12:13], v[12:13], 3, s[12:13]
	s_delay_alu instid0(VALU_DEP_1)
	v_lshl_add_u64 v[12:13], v[16:17], 3, v[12:13]
	global_load_b64 v[12:13], v[12:13], off
.LBB17_14:                              ;   in Loop: Header=BB17_10 Depth=3
	s_wait_xcnt 0x0
	s_or_b32 exec_lo, exec_lo, s31
	s_wait_loadcnt 0x0
	ds_store_b64 v25, v[12:13]
	s_wait_dscnt 0x0
	s_barrier_signal -1
	s_barrier_wait -1
	s_and_saveexec_b32 s31, s28
	s_cbranch_execz .LBB17_9
; %bb.15:                               ;   in Loop: Header=BB17_10 Depth=3
	global_load_b64 v[12:13], v[10:11], off
	ds_load_2addr_b64 v[14:17], v23 offset1:32
	ds_load_b128 v[30:33], v22
	ds_load_b128 v[34:37], v22 offset:16
	ds_load_2addr_b64 v[38:41], v23 offset0:64 offset1:96
	ds_load_b128 v[42:45], v22 offset:32
	ds_load_2addr_b64 v[46:49], v23 offset0:128 offset1:160
	s_wait_dscnt 0x4
	v_dual_mul_f32 v9, v15, v31 :: v_dual_mul_f32 v18, v14, v31
	s_delay_alu instid0(VALU_DEP_1) | instskip(NEXT) | instid1(VALU_DEP_2)
	v_dual_mul_f32 v19, v16, v33 :: v_dual_fma_f32 v9, v14, v30, -v9
	v_dual_fmac_f32 v18, v15, v30 :: v_dual_mul_f32 v14, v17, v33
	s_wait_dscnt 0x2
	s_delay_alu instid0(VALU_DEP_2) | instskip(NEXT) | instid1(VALU_DEP_3)
	v_dual_mul_f32 v30, v39, v35 :: v_dual_fmac_f32 v19, v17, v32
	v_dual_mul_f32 v35, v38, v35 :: v_dual_add_f32 v9, 0, v9
	s_delay_alu instid0(VALU_DEP_3)
	v_dual_add_f32 v18, 0, v18 :: v_dual_fma_f32 v29, v16, v32, -v14
	ds_load_b128 v[14:17], v22 offset:48
	v_dual_fmac_f32 v35, v39, v34 :: v_dual_add_f32 v18, v18, v19
	v_dual_add_f32 v9, v9, v29 :: v_dual_fma_f32 v29, v38, v34, -v30
	v_dual_mul_f32 v19, v41, v37 :: v_dual_mul_f32 v34, v40, v37
	ds_load_2addr_b64 v[30:33], v23 offset0:192 offset1:224
	v_dual_add_f32 v18, v18, v35 :: v_dual_add_f32 v9, v9, v29
	v_dual_fma_f32 v19, v40, v36, -v19 :: v_dual_fmac_f32 v34, v41, v36
	s_wait_dscnt 0x2
	v_dual_mul_f32 v29, v47, v43 :: v_dual_mul_f32 v43, v46, v43
	s_delay_alu instid0(VALU_DEP_2) | instskip(SKIP_4) | instid1(VALU_DEP_2)
	v_dual_add_f32 v9, v9, v19 :: v_dual_add_f32 v18, v18, v34
	ds_load_b128 v[34:37], v22 offset:64
	ds_load_2addr_b64 v[38:41], v26 offset1:32
	v_dual_fma_f32 v19, v46, v42, -v29 :: v_dual_fmac_f32 v43, v47, v42
	v_dual_mul_f32 v29, v49, v45 :: v_dual_mul_f32 v42, v48, v45
	v_add_f32_e32 v9, v9, v19
	s_delay_alu instid0(VALU_DEP_2) | instskip(SKIP_1) | instid1(VALU_DEP_3)
	v_dual_add_f32 v18, v18, v43 :: v_dual_fma_f32 v19, v48, v44, -v29
	s_wait_dscnt 0x2
	v_dual_fmac_f32 v42, v49, v44 :: v_dual_mul_f32 v29, v31, v15
	v_mul_f32_e32 v15, v30, v15
	s_delay_alu instid0(VALU_DEP_2) | instskip(NEXT) | instid1(VALU_DEP_2)
	v_dual_add_f32 v9, v9, v19 :: v_dual_add_f32 v18, v18, v42
	v_dual_fma_f32 v19, v30, v14, -v29 :: v_dual_fmac_f32 v15, v31, v14
	v_dual_mul_f32 v14, v33, v17 :: v_dual_mul_f32 v17, v32, v17
	ds_load_b128 v[42:45], v22 offset:80
	ds_load_2addr_b64 v[46:49], v26 offset0:64 offset1:96
	v_add_f32_e32 v9, v9, v19
	s_wait_dscnt 0x2
	v_dual_mul_f32 v19, v39, v35 :: v_dual_fma_f32 v14, v32, v16, -v14
	v_dual_add_f32 v15, v18, v15 :: v_dual_fmac_f32 v17, v33, v16
	v_dual_mul_f32 v18, v38, v35 :: v_dual_mul_f32 v29, v41, v37
	s_delay_alu instid0(VALU_DEP_3) | instskip(NEXT) | instid1(VALU_DEP_3)
	v_add_f32_e32 v9, v9, v14
	v_dual_fma_f32 v14, v38, v34, -v19 :: v_dual_add_f32 v19, v15, v17
	s_delay_alu instid0(VALU_DEP_3) | instskip(NEXT) | instid1(VALU_DEP_2)
	v_dual_fmac_f32 v18, v39, v34 :: v_dual_mul_f32 v34, v40, v37
	v_dual_fma_f32 v29, v40, v36, -v29 :: v_dual_add_f32 v9, v9, v14
	ds_load_b128 v[14:17], v22 offset:96
	ds_load_2addr_b64 v[30:33], v26 offset0:128 offset1:160
	v_dual_add_f32 v18, v19, v18 :: v_dual_fmac_f32 v34, v41, v36
	s_wait_dscnt 0x2
	v_dual_add_f32 v9, v9, v29 :: v_dual_mul_f32 v35, v47, v43
	v_mul_f32_e32 v19, v46, v43
	s_delay_alu instid0(VALU_DEP_3) | instskip(NEXT) | instid1(VALU_DEP_3)
	v_add_f32_e32 v18, v18, v34
	v_dual_fma_f32 v29, v46, v42, -v35 :: v_dual_mul_f32 v35, v49, v45
	s_delay_alu instid0(VALU_DEP_3) | instskip(NEXT) | instid1(VALU_DEP_2)
	v_dual_fmac_f32 v19, v47, v42 :: v_dual_mul_f32 v42, v48, v45
	v_dual_add_f32 v9, v9, v29 :: v_dual_fma_f32 v29, v48, v44, -v35
	ds_load_b128 v[34:37], v22 offset:112
	ds_load_2addr_b64 v[38:41], v26 offset0:192 offset1:224
	v_dual_add_f32 v18, v18, v19 :: v_dual_fmac_f32 v42, v49, v44
	s_wait_dscnt 0x2
	v_dual_mul_f32 v43, v31, v15 :: v_dual_add_f32 v9, v9, v29
	s_delay_alu instid0(VALU_DEP_1) | instskip(NEXT) | instid1(VALU_DEP_3)
	v_dual_mul_f32 v15, v30, v15 :: v_dual_fma_f32 v19, v30, v14, -v43
	v_add_f32_e32 v18, v18, v42
	s_delay_alu instid0(VALU_DEP_2)
	v_dual_fmac_f32 v15, v31, v14 :: v_dual_mul_f32 v14, v33, v17
	ds_load_b128 v[42:45], v22 offset:128
	ds_load_2addr_b64 v[46:49], v27 offset1:32
	v_dual_add_f32 v9, v9, v19 :: v_dual_mul_f32 v17, v32, v17
	v_dual_add_f32 v15, v18, v15 :: v_dual_fma_f32 v14, v32, v16, -v14
	s_wait_dscnt 0x2
	s_delay_alu instid0(VALU_DEP_2) | instskip(NEXT) | instid1(VALU_DEP_2)
	v_dual_fmac_f32 v17, v33, v16 :: v_dual_mul_f32 v16, v39, v35
	v_dual_mul_f32 v18, v38, v35 :: v_dual_add_f32 v9, v9, v14
	v_mul_f32_e32 v35, v40, v37
	s_delay_alu instid0(VALU_DEP_3) | instskip(NEXT) | instid1(VALU_DEP_3)
	v_dual_add_f32 v19, v15, v17 :: v_dual_fma_f32 v29, v38, v34, -v16
	v_fmac_f32_e32 v18, v39, v34
	ds_load_b128 v[14:17], v22 offset:144
	ds_load_2addr_b64 v[30:33], v27 offset0:64 offset1:96
	v_dual_mul_f32 v34, v41, v37 :: v_dual_fmac_f32 v35, v41, v36
	v_dual_add_f32 v9, v9, v29 :: v_dual_add_f32 v18, v19, v18
	s_wait_dscnt 0x2
	v_dual_mul_f32 v29, v47, v43 :: v_dual_mul_f32 v43, v46, v43
	s_delay_alu instid0(VALU_DEP_2) | instskip(SKIP_4) | instid1(VALU_DEP_1)
	v_dual_fma_f32 v19, v40, v36, -v34 :: v_dual_add_f32 v18, v18, v35
	ds_load_b128 v[34:37], v22 offset:160
	ds_load_2addr_b64 v[38:41], v27 offset0:128 offset1:160
	v_dual_fmac_f32 v43, v47, v42 :: v_dual_add_f32 v9, v9, v19
	v_dual_fma_f32 v19, v46, v42, -v29 :: v_dual_mul_f32 v29, v49, v45
	v_dual_mul_f32 v42, v48, v45 :: v_dual_add_f32 v9, v9, v19
	s_wait_dscnt 0x2
	s_delay_alu instid0(VALU_DEP_2) | instskip(NEXT) | instid1(VALU_DEP_2)
	v_dual_fma_f32 v19, v48, v44, -v29 :: v_dual_mul_f32 v29, v31, v15
	v_dual_fmac_f32 v42, v49, v44 :: v_dual_mul_f32 v15, v30, v15
	s_delay_alu instid0(VALU_DEP_2) | instskip(NEXT) | instid1(VALU_DEP_2)
	v_dual_add_f32 v9, v9, v19 :: v_dual_fma_f32 v19, v30, v14, -v29
	v_dual_add_f32 v18, v18, v43 :: v_dual_fmac_f32 v15, v31, v14
	v_dual_mul_f32 v14, v33, v17 :: v_dual_mul_f32 v17, v32, v17
	s_delay_alu instid0(VALU_DEP_2)
	v_add_f32_e32 v18, v18, v42
	ds_load_b128 v[42:45], v22 offset:176
	ds_load_2addr_b64 v[46:49], v27 offset0:192 offset1:224
	v_dual_add_f32 v9, v9, v19 :: v_dual_fma_f32 v14, v32, v16, -v14
	s_wait_dscnt 0x2
	v_dual_mul_f32 v19, v39, v35 :: v_dual_fmac_f32 v17, v33, v16
	v_add_f32_e32 v15, v18, v15
	s_delay_alu instid0(VALU_DEP_3) | instskip(NEXT) | instid1(VALU_DEP_3)
	v_dual_mul_f32 v18, v38, v35 :: v_dual_add_f32 v9, v9, v14
	v_dual_fma_f32 v14, v38, v34, -v19 :: v_dual_mul_f32 v16, v41, v37
	s_delay_alu instid0(VALU_DEP_3) | instskip(NEXT) | instid1(VALU_DEP_3)
	v_add_f32_e32 v19, v15, v17
	v_dual_fmac_f32 v18, v39, v34 :: v_dual_mul_f32 v34, v40, v37
	s_delay_alu instid0(VALU_DEP_3)
	v_dual_add_f32 v9, v9, v14 :: v_dual_fma_f32 v29, v40, v36, -v16
	ds_load_b128 v[14:17], v22 offset:192
	ds_load_2addr_b64 v[30:33], v28 offset1:32
	v_dual_add_f32 v18, v19, v18 :: v_dual_fmac_f32 v34, v41, v36
	s_wait_dscnt 0x2
	v_dual_add_f32 v9, v9, v29 :: v_dual_mul_f32 v35, v47, v43
	s_delay_alu instid0(VALU_DEP_1) | instskip(NEXT) | instid1(VALU_DEP_3)
	v_dual_mul_f32 v19, v46, v43 :: v_dual_fma_f32 v29, v46, v42, -v35
	v_add_f32_e32 v18, v18, v34
	ds_load_b128 v[34:37], v22 offset:208
	ds_load_2addr_b64 v[38:41], v28 offset0:64 offset1:96
	v_dual_fmac_f32 v19, v47, v42 :: v_dual_add_f32 v9, v9, v29
	v_dual_mul_f32 v29, v49, v45 :: v_dual_mul_f32 v42, v48, v45
	s_delay_alu instid0(VALU_DEP_1) | instskip(SKIP_1) | instid1(VALU_DEP_2)
	v_dual_add_f32 v18, v18, v19 :: v_dual_fma_f32 v19, v48, v44, -v29
	s_wait_dscnt 0x2
	v_dual_fmac_f32 v42, v49, v44 :: v_dual_mul_f32 v29, v31, v15
	v_mul_f32_e32 v15, v30, v15
	s_delay_alu instid0(VALU_DEP_2) | instskip(NEXT) | instid1(VALU_DEP_2)
	v_dual_add_f32 v9, v9, v19 :: v_dual_add_f32 v18, v18, v42
	v_dual_fma_f32 v19, v30, v14, -v29 :: v_dual_fmac_f32 v15, v31, v14
	v_dual_mul_f32 v14, v33, v17 :: v_dual_mul_f32 v17, v32, v17
	ds_load_b128 v[42:45], v22 offset:224
	ds_load_2addr_b64 v[46:49], v28 offset0:128 offset1:160
	v_add_f32_e32 v9, v9, v19
	v_dual_add_f32 v15, v18, v15 :: v_dual_fma_f32 v14, v32, v16, -v14
	s_wait_dscnt 0x2
	v_dual_fmac_f32 v17, v33, v16 :: v_dual_mul_f32 v18, v38, v35
	s_delay_alu instid0(VALU_DEP_2) | instskip(NEXT) | instid1(VALU_DEP_2)
	v_dual_add_f32 v9, v9, v14 :: v_dual_mul_f32 v29, v39, v35
	v_fmac_f32_e32 v18, v39, v34
	s_delay_alu instid0(VALU_DEP_3)
	v_add_f32_e32 v19, v15, v17
	ds_load_b128 v[14:17], v22 offset:240
	ds_load_2addr_b64 v[30:33], v28 offset0:192 offset1:224
	v_dual_fma_f32 v29, v38, v34, -v29 :: v_dual_mul_f32 v35, v40, v37
	v_dual_add_f32 v18, v19, v18 :: v_dual_mul_f32 v19, v41, v37
	s_wait_dscnt 0x2
	s_delay_alu instid0(VALU_DEP_2) | instskip(NEXT) | instid1(VALU_DEP_3)
	v_dual_add_f32 v9, v9, v29 :: v_dual_mul_f32 v34, v46, v43
	v_fmac_f32_e32 v35, v41, v36
	s_delay_alu instid0(VALU_DEP_3) | instskip(NEXT) | instid1(VALU_DEP_2)
	v_dual_fma_f32 v19, v40, v36, -v19 :: v_dual_mul_f32 v29, v47, v43
	v_dual_fmac_f32 v34, v47, v42 :: v_dual_add_f32 v18, v18, v35
	s_delay_alu instid0(VALU_DEP_2) | instskip(NEXT) | instid1(VALU_DEP_3)
	v_dual_mul_f32 v35, v48, v45 :: v_dual_add_f32 v9, v9, v19
	v_dual_fma_f32 v19, v46, v42, -v29 :: v_dual_mul_f32 v29, v49, v45
	s_delay_alu instid0(VALU_DEP_2) | instskip(SKIP_2) | instid1(VALU_DEP_3)
	v_dual_add_f32 v18, v18, v34 :: v_dual_fmac_f32 v35, v49, v44
	s_wait_dscnt 0x0
	v_mul_f32_e32 v34, v30, v15
	v_dual_add_f32 v9, v9, v19 :: v_dual_fma_f32 v19, v48, v44, -v29
	v_mul_f32_e32 v15, v31, v15
	v_dual_add_f32 v18, v18, v35 :: v_dual_mul_f32 v29, v32, v17
	s_delay_alu instid0(VALU_DEP_4) | instskip(NEXT) | instid1(VALU_DEP_3)
	v_dual_fmac_f32 v34, v31, v14 :: v_dual_mul_f32 v17, v33, v17
	v_dual_add_f32 v9, v9, v19 :: v_dual_fma_f32 v14, v30, v14, -v15
	s_delay_alu instid0(VALU_DEP_2) | instskip(NEXT) | instid1(VALU_DEP_3)
	v_dual_fmac_f32 v29, v33, v16 :: v_dual_add_f32 v15, v18, v34
	v_fma_f32 v18, v32, v16, -v17
	v_mov_b64_e32 v[16:17], s[6:7]
	s_delay_alu instid0(VALU_DEP_3) | instskip(NEXT) | instid1(VALU_DEP_1)
	v_dual_add_f32 v9, v9, v14 :: v_dual_add_f32 v14, v15, v29
	v_add_f32_e32 v18, v9, v18
	s_delay_alu instid0(VALU_DEP_2) | instskip(SKIP_1) | instid1(VALU_DEP_1)
	v_pk_mul_f32 v[14:15], v[16:17], v[14:15] op_sel_hi:[1,0]
	v_mov_b64_e32 v[16:17], s[34:35]
	v_pk_fma_f32 v[30:31], v[16:17], v[18:19], v[14:15] op_sel_hi:[1,0,1]
	v_pk_fma_f32 v[14:15], v[16:17], v[18:19], v[14:15] neg_lo:[0,0,1] neg_hi:[0,0,1]
	s_delay_alu instid0(VALU_DEP_2) | instskip(SKIP_1) | instid1(VALU_DEP_1)
	v_mov_b32_e32 v15, v31
	s_wait_loadcnt 0x0
	v_pk_add_f32 v[12:13], v[12:13], v[14:15]
	global_store_b64 v[10:11], v[12:13], off
	s_branch .LBB17_9
.LBB17_16:
	s_endpgm
	.section	.rodata,"a",@progbits
	.p2align	6, 0x0
	.amdhsa_kernel _ZL24rocblas_symm_hemm_kernelILb0ELb1ELi32E19rocblas_complex_numIfEPKS1_PS1_EvbiiT2_T3_lllS6_lllT4_llli
		.amdhsa_group_segment_fixed_size 16384
		.amdhsa_private_segment_fixed_size 0
		.amdhsa_kernarg_size 384
		.amdhsa_user_sgpr_count 2
		.amdhsa_user_sgpr_dispatch_ptr 0
		.amdhsa_user_sgpr_queue_ptr 0
		.amdhsa_user_sgpr_kernarg_segment_ptr 1
		.amdhsa_user_sgpr_dispatch_id 0
		.amdhsa_user_sgpr_kernarg_preload_length 0
		.amdhsa_user_sgpr_kernarg_preload_offset 0
		.amdhsa_user_sgpr_private_segment_size 0
		.amdhsa_wavefront_size32 1
		.amdhsa_uses_dynamic_stack 0
		.amdhsa_enable_private_segment 0
		.amdhsa_system_sgpr_workgroup_id_x 1
		.amdhsa_system_sgpr_workgroup_id_y 1
		.amdhsa_system_sgpr_workgroup_id_z 1
		.amdhsa_system_sgpr_workgroup_info 0
		.amdhsa_system_vgpr_workitem_id 1
		.amdhsa_next_free_vgpr 50
		.amdhsa_next_free_sgpr 42
		.amdhsa_named_barrier_count 0
		.amdhsa_reserve_vcc 1
		.amdhsa_float_round_mode_32 0
		.amdhsa_float_round_mode_16_64 0
		.amdhsa_float_denorm_mode_32 3
		.amdhsa_float_denorm_mode_16_64 3
		.amdhsa_fp16_overflow 0
		.amdhsa_memory_ordered 1
		.amdhsa_forward_progress 1
		.amdhsa_inst_pref_size 19
		.amdhsa_round_robin_scheduling 0
		.amdhsa_exception_fp_ieee_invalid_op 0
		.amdhsa_exception_fp_denorm_src 0
		.amdhsa_exception_fp_ieee_div_zero 0
		.amdhsa_exception_fp_ieee_overflow 0
		.amdhsa_exception_fp_ieee_underflow 0
		.amdhsa_exception_fp_ieee_inexact 0
		.amdhsa_exception_int_div_zero 0
	.end_amdhsa_kernel
	.section	.text._ZL24rocblas_symm_hemm_kernelILb0ELb1ELi32E19rocblas_complex_numIfEPKS1_PS1_EvbiiT2_T3_lllS6_lllT4_llli,"axG",@progbits,_ZL24rocblas_symm_hemm_kernelILb0ELb1ELi32E19rocblas_complex_numIfEPKS1_PS1_EvbiiT2_T3_lllS6_lllT4_llli,comdat
.Lfunc_end17:
	.size	_ZL24rocblas_symm_hemm_kernelILb0ELb1ELi32E19rocblas_complex_numIfEPKS1_PS1_EvbiiT2_T3_lllS6_lllT4_llli, .Lfunc_end17-_ZL24rocblas_symm_hemm_kernelILb0ELb1ELi32E19rocblas_complex_numIfEPKS1_PS1_EvbiiT2_T3_lllS6_lllT4_llli
                                        ; -- End function
	.set _ZL24rocblas_symm_hemm_kernelILb0ELb1ELi32E19rocblas_complex_numIfEPKS1_PS1_EvbiiT2_T3_lllS6_lllT4_llli.num_vgpr, 50
	.set _ZL24rocblas_symm_hemm_kernelILb0ELb1ELi32E19rocblas_complex_numIfEPKS1_PS1_EvbiiT2_T3_lllS6_lllT4_llli.num_agpr, 0
	.set _ZL24rocblas_symm_hemm_kernelILb0ELb1ELi32E19rocblas_complex_numIfEPKS1_PS1_EvbiiT2_T3_lllS6_lllT4_llli.numbered_sgpr, 42
	.set _ZL24rocblas_symm_hemm_kernelILb0ELb1ELi32E19rocblas_complex_numIfEPKS1_PS1_EvbiiT2_T3_lllS6_lllT4_llli.num_named_barrier, 0
	.set _ZL24rocblas_symm_hemm_kernelILb0ELb1ELi32E19rocblas_complex_numIfEPKS1_PS1_EvbiiT2_T3_lllS6_lllT4_llli.private_seg_size, 0
	.set _ZL24rocblas_symm_hemm_kernelILb0ELb1ELi32E19rocblas_complex_numIfEPKS1_PS1_EvbiiT2_T3_lllS6_lllT4_llli.uses_vcc, 1
	.set _ZL24rocblas_symm_hemm_kernelILb0ELb1ELi32E19rocblas_complex_numIfEPKS1_PS1_EvbiiT2_T3_lllS6_lllT4_llli.uses_flat_scratch, 0
	.set _ZL24rocblas_symm_hemm_kernelILb0ELb1ELi32E19rocblas_complex_numIfEPKS1_PS1_EvbiiT2_T3_lllS6_lllT4_llli.has_dyn_sized_stack, 0
	.set _ZL24rocblas_symm_hemm_kernelILb0ELb1ELi32E19rocblas_complex_numIfEPKS1_PS1_EvbiiT2_T3_lllS6_lllT4_llli.has_recursion, 0
	.set _ZL24rocblas_symm_hemm_kernelILb0ELb1ELi32E19rocblas_complex_numIfEPKS1_PS1_EvbiiT2_T3_lllS6_lllT4_llli.has_indirect_call, 0
	.section	.AMDGPU.csdata,"",@progbits
; Kernel info:
; codeLenInByte = 2384
; TotalNumSgprs: 44
; NumVgprs: 50
; ScratchSize: 0
; MemoryBound: 0
; FloatMode: 240
; IeeeMode: 1
; LDSByteSize: 16384 bytes/workgroup (compile time only)
; SGPRBlocks: 0
; VGPRBlocks: 3
; NumSGPRsForWavesPerEU: 44
; NumVGPRsForWavesPerEU: 50
; NamedBarCnt: 0
; Occupancy: 16
; WaveLimiterHint : 0
; COMPUTE_PGM_RSRC2:SCRATCH_EN: 0
; COMPUTE_PGM_RSRC2:USER_SGPR: 2
; COMPUTE_PGM_RSRC2:TRAP_HANDLER: 0
; COMPUTE_PGM_RSRC2:TGID_X_EN: 1
; COMPUTE_PGM_RSRC2:TGID_Y_EN: 1
; COMPUTE_PGM_RSRC2:TGID_Z_EN: 1
; COMPUTE_PGM_RSRC2:TIDIG_COMP_CNT: 1
	.section	.text._ZL25rocblas_symm_scale_kernelILi128ELi8EPK19rocblas_complex_numIdEPS1_EviiT1_T2_llli,"axG",@progbits,_ZL25rocblas_symm_scale_kernelILi128ELi8EPK19rocblas_complex_numIdEPS1_EviiT1_T2_llli,comdat
	.globl	_ZL25rocblas_symm_scale_kernelILi128ELi8EPK19rocblas_complex_numIdEPS1_EviiT1_T2_llli ; -- Begin function _ZL25rocblas_symm_scale_kernelILi128ELi8EPK19rocblas_complex_numIdEPS1_EviiT1_T2_llli
	.p2align	8
	.type	_ZL25rocblas_symm_scale_kernelILi128ELi8EPK19rocblas_complex_numIdEPS1_EviiT1_T2_llli,@function
_ZL25rocblas_symm_scale_kernelILi128ELi8EPK19rocblas_complex_numIdEPS1_EviiT1_T2_llli: ; @_ZL25rocblas_symm_scale_kernelILi128ELi8EPK19rocblas_complex_numIdEPS1_EviiT1_T2_llli
; %bb.0:
	s_load_b256 s[4:11], s[0:1], 0x8
	s_wait_kmcnt 0x0
	s_load_b128 s[12:15], s[4:5], 0x0
	s_wait_kmcnt 0x0
	v_cmp_eq_f64_e64 s2, s[12:13], 1.0
	v_cmp_eq_f64_e64 s3, s[14:15], 0
	s_and_b32 s2, s2, s3
	s_delay_alu instid0(SALU_CYCLE_1)
	s_and_b32 vcc_lo, exec_lo, s2
	s_cbranch_vccnz .LBB18_9
; %bb.1:
	s_load_b32 s16, s[0:1], 0x30
	s_bfe_u32 s2, ttmp6, 0x40014
	s_lshr_b32 s3, ttmp7, 16
	s_add_co_i32 s2, s2, 1
	s_bfe_u32 s5, ttmp6, 0x40008
	s_mul_i32 s4, s3, s2
	s_getreg_b32 s2, hwreg(HW_REG_IB_STS2, 6, 4)
	s_add_co_i32 s5, s5, s4
	s_cmp_eq_u32 s2, 0
	s_cselect_b32 s17, s3, s5
	s_mov_b32 s3, 0
	s_wait_kmcnt 0x0
	s_cmp_ge_u32 s17, s16
	s_cbranch_scc1 .LBB18_9
; %bb.2:
	s_bfe_u32 s4, ttmp6, 0x40010
	s_bfe_u32 s18, ttmp6, 0x4000c
	s_and_b32 s5, ttmp7, 0xffff
	s_add_co_i32 s4, s4, 1
	s_add_co_i32 s18, s18, 1
	s_mul_i32 s4, s5, s4
	s_bfe_u32 s19, ttmp6, 0x40004
	s_and_b32 s20, ttmp6, 15
	s_mul_i32 s18, ttmp9, s18
	s_add_co_i32 s19, s19, s4
	s_add_co_i32 s20, s20, s18
	v_bfe_u32 v1, v0, 10, 10
	s_cmp_eq_u32 s2, 0
	v_mov_b32_e32 v5, 0
	s_cselect_b32 s2, s5, s19
	v_cmp_neq_f64_e64 s21, s[12:13], 0
	v_lshl_add_u32 v4, s2, 3, v1
	v_cmp_neq_f64_e64 s22, s[14:15], 0
	s_load_b64 s[18:19], s[0:1], 0x0
	v_and_b32_e32 v0, 0x3ff, v0
	s_cselect_b32 s2, ttmp9, s20
	v_mul_u64_e32 v[2:3], s[10:11], v[4:5]
	s_lshl_b64 s[4:5], s[8:9], 4
	v_mov_b32_e32 v1, v5
	v_lshl_add_u32 v0, s2, 7, v0
	s_load_b64 s[8:9], s[0:1], 0x28
	s_wait_xcnt 0x0
	s_add_nc_u64 s[0:1], s[0:1], 56
	s_wait_kmcnt 0x0
	v_cmp_gt_u32_e64 s2, s18, v0
	s_delay_alu instid0(VALU_DEP_4)
	v_lshl_add_u64 v[2:3], v[2:3], 4, s[4:5]
	s_ashr_i32 s5, s19, 31
	s_mov_b32 s4, s19
	s_or_b32 s19, s21, s22
	v_cmp_gt_i64_e32 vcc_lo, s[4:5], v[4:5]
	v_lshl_add_u64 v[2:3], v[0:1], 4, v[2:3]
	s_delay_alu instid0(VALU_DEP_1) | instskip(SKIP_3) | instid1(VALU_DEP_1)
	v_add_nc_u64_e32 v[2:3], s[6:7], v[2:3]
	s_and_b32 s18, s2, vcc_lo
	s_lshl_b64 s[6:7], s[8:9], 4
	s_lshl_b64 s[8:9], s[10:11], 4
	v_add_nc_u64_e32 v[6:7], 8, v[2:3]
	s_branch .LBB18_4
.LBB18_3:                               ;   in Loop: Header=BB18_4 Depth=1
	s_or_b32 exec_lo, exec_lo, s20
	s_add_co_i32 s17, s17, 0x10000
	s_delay_alu instid0(SALU_CYCLE_1)
	s_cmp_lt_u32 s17, s16
	s_cbranch_scc0 .LBB18_9
.LBB18_4:                               ; =>This Loop Header: Depth=1
                                        ;     Child Loop BB18_7 Depth 2
	s_and_saveexec_b32 s20, s18
	s_cbranch_execz .LBB18_3
; %bb.5:                                ;   in Loop: Header=BB18_4 Depth=1
	s_load_b32 s2, s[0:1], 0x4
	s_delay_alu instid0(VALU_DEP_1) | instskip(SKIP_2) | instid1(VALU_DEP_2)
	v_mad_nc_u64_u32 v[8:9], s6, s17, v[6:7]
	v_mov_b64_e32 v[10:11], v[4:5]
	s_mov_b32 s21, 0
	v_mad_u32 v9, s7, s17, v9
	s_wait_kmcnt 0x0
	s_lshl_b32 s2, s2, 3
	s_delay_alu instid0(SALU_CYCLE_1)
	s_mul_u64 s[10:11], s[8:9], s[2:3]
	s_branch .LBB18_7
.LBB18_6:                               ;   in Loop: Header=BB18_7 Depth=2
	v_add_nc_u64_e32 v[10:11], s[2:3], v[10:11]
	global_store_b128 v[8:9], v[0:3], off offset:-8
	s_wait_xcnt 0x0
	v_add_nc_u64_e32 v[8:9], s[10:11], v[8:9]
	v_cmp_le_i64_e32 vcc_lo, s[4:5], v[10:11]
	s_or_b32 s21, vcc_lo, s21
	s_delay_alu instid0(SALU_CYCLE_1)
	s_and_not1_b32 exec_lo, exec_lo, s21
	s_cbranch_execz .LBB18_3
.LBB18_7:                               ;   Parent Loop BB18_4 Depth=1
                                        ; =>  This Inner Loop Header: Depth=2
	v_mov_b64_e32 v[2:3], 0
	v_mov_b64_e32 v[0:1], 0
	s_and_not1_b32 vcc_lo, exec_lo, s19
	s_cbranch_vccnz .LBB18_6
; %bb.8:                                ;   in Loop: Header=BB18_7 Depth=2
	global_load_b128 v[12:15], v[8:9], off offset:-8
	s_wait_loadcnt 0x0
	v_mul_f64_e32 v[0:1], s[14:15], v[14:15]
	v_mul_f64_e32 v[2:3], s[12:13], v[14:15]
	s_delay_alu instid0(VALU_DEP_2) | instskip(NEXT) | instid1(VALU_DEP_2)
	v_fma_f64 v[0:1], s[12:13], v[12:13], -v[0:1]
	v_fmac_f64_e32 v[2:3], s[14:15], v[12:13]
	s_branch .LBB18_6
.LBB18_9:
	s_endpgm
	.section	.rodata,"a",@progbits
	.p2align	6, 0x0
	.amdhsa_kernel _ZL25rocblas_symm_scale_kernelILi128ELi8EPK19rocblas_complex_numIdEPS1_EviiT1_T2_llli
		.amdhsa_group_segment_fixed_size 0
		.amdhsa_private_segment_fixed_size 0
		.amdhsa_kernarg_size 312
		.amdhsa_user_sgpr_count 2
		.amdhsa_user_sgpr_dispatch_ptr 0
		.amdhsa_user_sgpr_queue_ptr 0
		.amdhsa_user_sgpr_kernarg_segment_ptr 1
		.amdhsa_user_sgpr_dispatch_id 0
		.amdhsa_user_sgpr_kernarg_preload_length 0
		.amdhsa_user_sgpr_kernarg_preload_offset 0
		.amdhsa_user_sgpr_private_segment_size 0
		.amdhsa_wavefront_size32 1
		.amdhsa_uses_dynamic_stack 0
		.amdhsa_enable_private_segment 0
		.amdhsa_system_sgpr_workgroup_id_x 1
		.amdhsa_system_sgpr_workgroup_id_y 1
		.amdhsa_system_sgpr_workgroup_id_z 1
		.amdhsa_system_sgpr_workgroup_info 0
		.amdhsa_system_vgpr_workitem_id 1
		.amdhsa_next_free_vgpr 16
		.amdhsa_next_free_sgpr 23
		.amdhsa_named_barrier_count 0
		.amdhsa_reserve_vcc 1
		.amdhsa_float_round_mode_32 0
		.amdhsa_float_round_mode_16_64 0
		.amdhsa_float_denorm_mode_32 3
		.amdhsa_float_denorm_mode_16_64 3
		.amdhsa_fp16_overflow 0
		.amdhsa_memory_ordered 1
		.amdhsa_forward_progress 1
		.amdhsa_inst_pref_size 5
		.amdhsa_round_robin_scheduling 0
		.amdhsa_exception_fp_ieee_invalid_op 0
		.amdhsa_exception_fp_denorm_src 0
		.amdhsa_exception_fp_ieee_div_zero 0
		.amdhsa_exception_fp_ieee_overflow 0
		.amdhsa_exception_fp_ieee_underflow 0
		.amdhsa_exception_fp_ieee_inexact 0
		.amdhsa_exception_int_div_zero 0
	.end_amdhsa_kernel
	.section	.text._ZL25rocblas_symm_scale_kernelILi128ELi8EPK19rocblas_complex_numIdEPS1_EviiT1_T2_llli,"axG",@progbits,_ZL25rocblas_symm_scale_kernelILi128ELi8EPK19rocblas_complex_numIdEPS1_EviiT1_T2_llli,comdat
.Lfunc_end18:
	.size	_ZL25rocblas_symm_scale_kernelILi128ELi8EPK19rocblas_complex_numIdEPS1_EviiT1_T2_llli, .Lfunc_end18-_ZL25rocblas_symm_scale_kernelILi128ELi8EPK19rocblas_complex_numIdEPS1_EviiT1_T2_llli
                                        ; -- End function
	.set _ZL25rocblas_symm_scale_kernelILi128ELi8EPK19rocblas_complex_numIdEPS1_EviiT1_T2_llli.num_vgpr, 16
	.set _ZL25rocblas_symm_scale_kernelILi128ELi8EPK19rocblas_complex_numIdEPS1_EviiT1_T2_llli.num_agpr, 0
	.set _ZL25rocblas_symm_scale_kernelILi128ELi8EPK19rocblas_complex_numIdEPS1_EviiT1_T2_llli.numbered_sgpr, 23
	.set _ZL25rocblas_symm_scale_kernelILi128ELi8EPK19rocblas_complex_numIdEPS1_EviiT1_T2_llli.num_named_barrier, 0
	.set _ZL25rocblas_symm_scale_kernelILi128ELi8EPK19rocblas_complex_numIdEPS1_EviiT1_T2_llli.private_seg_size, 0
	.set _ZL25rocblas_symm_scale_kernelILi128ELi8EPK19rocblas_complex_numIdEPS1_EviiT1_T2_llli.uses_vcc, 1
	.set _ZL25rocblas_symm_scale_kernelILi128ELi8EPK19rocblas_complex_numIdEPS1_EviiT1_T2_llli.uses_flat_scratch, 0
	.set _ZL25rocblas_symm_scale_kernelILi128ELi8EPK19rocblas_complex_numIdEPS1_EviiT1_T2_llli.has_dyn_sized_stack, 0
	.set _ZL25rocblas_symm_scale_kernelILi128ELi8EPK19rocblas_complex_numIdEPS1_EviiT1_T2_llli.has_recursion, 0
	.set _ZL25rocblas_symm_scale_kernelILi128ELi8EPK19rocblas_complex_numIdEPS1_EviiT1_T2_llli.has_indirect_call, 0
	.section	.AMDGPU.csdata,"",@progbits
; Kernel info:
; codeLenInByte = 556
; TotalNumSgprs: 25
; NumVgprs: 16
; ScratchSize: 0
; MemoryBound: 0
; FloatMode: 240
; IeeeMode: 1
; LDSByteSize: 0 bytes/workgroup (compile time only)
; SGPRBlocks: 0
; VGPRBlocks: 0
; NumSGPRsForWavesPerEU: 25
; NumVGPRsForWavesPerEU: 16
; NamedBarCnt: 0
; Occupancy: 16
; WaveLimiterHint : 0
; COMPUTE_PGM_RSRC2:SCRATCH_EN: 0
; COMPUTE_PGM_RSRC2:USER_SGPR: 2
; COMPUTE_PGM_RSRC2:TRAP_HANDLER: 0
; COMPUTE_PGM_RSRC2:TGID_X_EN: 1
; COMPUTE_PGM_RSRC2:TGID_Y_EN: 1
; COMPUTE_PGM_RSRC2:TGID_Z_EN: 1
; COMPUTE_PGM_RSRC2:TIDIG_COMP_CNT: 1
	.section	.text._ZL24rocblas_symm_hemm_kernelILb0ELb0ELi32EPK19rocblas_complex_numIdES3_PS1_EvbiiT2_T3_lllS6_lllT4_llli,"axG",@progbits,_ZL24rocblas_symm_hemm_kernelILb0ELb0ELi32EPK19rocblas_complex_numIdES3_PS1_EvbiiT2_T3_lllS6_lllT4_llli,comdat
	.globl	_ZL24rocblas_symm_hemm_kernelILb0ELb0ELi32EPK19rocblas_complex_numIdES3_PS1_EvbiiT2_T3_lllS6_lllT4_llli ; -- Begin function _ZL24rocblas_symm_hemm_kernelILb0ELb0ELi32EPK19rocblas_complex_numIdES3_PS1_EvbiiT2_T3_lllS6_lllT4_llli
	.p2align	8
	.type	_ZL24rocblas_symm_hemm_kernelILb0ELb0ELi32EPK19rocblas_complex_numIdES3_PS1_EvbiiT2_T3_lllS6_lllT4_llli,@function
_ZL24rocblas_symm_hemm_kernelILb0ELb0ELi32EPK19rocblas_complex_numIdES3_PS1_EvbiiT2_T3_lllS6_lllT4_llli: ; @_ZL24rocblas_symm_hemm_kernelILb0ELb0ELi32EPK19rocblas_complex_numIdES3_PS1_EvbiiT2_T3_lllS6_lllT4_llli
; %bb.0:
	s_load_b512 s[4:19], s[0:1], 0x10
	s_wait_kmcnt 0x0
	s_load_b128 s[28:31], s[4:5], 0x0
	s_wait_kmcnt 0x0
	v_cmp_eq_f64_e64 s2, s[28:29], 0
	v_cmp_eq_f64_e64 s3, s[30:31], 0
	s_and_b32 s2, s2, s3
	s_delay_alu instid0(SALU_CYCLE_1)
	s_and_b32 vcc_lo, exec_lo, s2
	s_cbranch_vccnz .LBB19_18
; %bb.1:
	s_load_b32 s33, s[0:1], 0x78
	s_bfe_u32 s2, ttmp6, 0x40014
	s_lshr_b32 s4, ttmp7, 16
	s_add_co_i32 s2, s2, 1
	s_bfe_u32 s5, ttmp6, 0x40008
	s_mul_i32 s2, s4, s2
	s_getreg_b32 s3, hwreg(HW_REG_IB_STS2, 6, 4)
	s_add_co_i32 s5, s5, s2
	s_cmp_eq_u32 s3, 0
	s_cselect_b32 s4, s4, s5
	s_mov_b32 s5, 0
	s_wait_kmcnt 0x0
	s_cmp_ge_u32 s4, s33
	s_cbranch_scc1 .LBB19_18
; %bb.2:
	s_clause 0x1
	s_load_b96 s[36:38], s[0:1], 0x0
	s_load_b256 s[20:27], s[0:1], 0x50
	s_lshl_b64 s[40:41], s[8:9], 4
	s_lshl_b64 s[16:17], s[16:17], 4
	v_bfe_u32 v20, v0, 10, 10
	v_and_b32_e32 v21, 0x3ff, v0
	s_add_nc_u64 s[6:7], s[6:7], s[40:41]
	s_add_nc_u64 s[14:15], s[14:15], s[16:17]
	;; [unrolled: 1-line block ×3, first 2 shown]
	s_delay_alu instid0(VALU_DEP_1) | instskip(NEXT) | instid1(VALU_DEP_1)
	v_dual_lshlrev_b32 v0, 4, v20 :: v_dual_lshlrev_b32 v22, 9, v21
	v_or_b32_e32 v23, 0x4000, v0
	s_delay_alu instid0(VALU_DEP_1)
	v_dual_add_nc_u32 v24, v22, v0 :: v_dual_add_nc_u32 v25, v23, v22
	s_wait_kmcnt 0x0
	s_bitcmp1_b32 s36, 0
	s_cselect_b32 s2, -1, 0
	s_add_co_i32 s8, s38, -1
	s_bfe_u32 s34, ttmp6, 0x4000c
	s_bfe_u32 s36, ttmp6, 0x40010
	s_ashr_i32 s42, s8, 31
	s_and_b32 s35, ttmp7, 0xffff
	s_add_co_i32 s34, s34, 1
	s_add_co_i32 s36, s36, 1
	s_lshr_b32 s42, s42, 27
	s_and_b32 s9, ttmp6, 15
	s_bfe_u32 s39, ttmp6, 0x40004
	s_mul_i32 s34, ttmp9, s34
	s_mul_i32 s36, s35, s36
	s_add_co_i32 s8, s8, s42
	s_lshl_b64 s[24:25], s[24:25], 4
	s_add_co_i32 s42, s9, s34
	s_add_co_i32 s39, s39, s36
	s_ashr_i32 s34, s8, 5
	s_load_b64 s[8:9], s[0:1], 0x70
	s_cmp_eq_u32 s3, 0
	s_add_nc_u64 s[22:23], s[22:23], s[24:25]
	s_cselect_b32 s3, ttmp9, s42
	s_cselect_b32 s35, s35, s39
	v_lshl_add_u32 v8, s3, 5, v21
	s_cmp_le_i32 s35, s34
	s_cselect_b32 s36, -1, 0
	s_cmp_gt_i32 s37, 0
	s_delay_alu instid0(VALU_DEP_1)
	v_ashrrev_i32_e32 v9, 31, v8
	v_cmp_gt_i32_e64 s3, s37, v8
	s_cselect_b32 s39, -1, 0
	v_lshl_add_u64 v[10:11], v[8:9], 4, s[22:23]
	s_branch .LBB19_4
.LBB19_3:                               ;   in Loop: Header=BB19_4 Depth=1
	s_add_co_i32 s4, s4, 0x10000
	s_delay_alu instid0(SALU_CYCLE_1)
	s_cmp_lt_u32 s4, s33
	s_cbranch_scc0 .LBB19_18
.LBB19_4:                               ; =>This Loop Header: Depth=1
                                        ;     Child Loop BB19_7 Depth 2
                                        ;       Child Loop BB19_10 Depth 3
                                        ;         Child Loop BB19_16 Depth 4
	s_and_not1_b32 vcc_lo, exec_lo, s36
	s_cbranch_vccnz .LBB19_3
; %bb.5:                                ;   in Loop: Header=BB19_4 Depth=1
	s_wait_xcnt 0x0
	s_load_b32 s1, s[16:17], 0x4
	s_wait_kmcnt 0x0
	s_mul_u64 s[40:41], s[8:9], s[4:5]
	s_mul_u64 s[22:23], s[12:13], s[4:5]
	;; [unrolled: 1-line block ×3, first 2 shown]
	v_lshl_add_u64 v[12:13], s[40:41], 4, v[10:11]
	s_lshl_b64 s[22:23], s[22:23], 4
	s_lshl_b64 s[24:25], s[24:25], 4
	s_add_nc_u64 s[22:23], s[6:7], s[22:23]
	s_add_nc_u64 s[24:25], s[14:15], s[24:25]
	s_mov_b32 s40, s35
	s_branch .LBB19_7
.LBB19_6:                               ;   in Loop: Header=BB19_7 Depth=2
	s_add_co_i32 s40, s40, s1
	s_delay_alu instid0(SALU_CYCLE_1)
	s_cmp_gt_i32 s40, s34
	s_cbranch_scc1 .LBB19_3
.LBB19_7:                               ;   Parent Loop BB19_4 Depth=1
                                        ; =>  This Loop Header: Depth=2
                                        ;       Child Loop BB19_10 Depth 3
                                        ;         Child Loop BB19_16 Depth 4
	s_and_not1_b32 vcc_lo, exec_lo, s39
	s_cbranch_vccnz .LBB19_6
; %bb.8:                                ;   in Loop: Header=BB19_7 Depth=2
	v_lshl_add_u32 v0, s40, 5, v20
	s_mov_b32 s42, 0
	s_delay_alu instid0(VALU_DEP_1) | instskip(SKIP_1) | instid1(VALU_DEP_2)
	v_ashrrev_i32_e32 v1, 31, v0
	v_cmp_gt_i32_e32 vcc_lo, s38, v0
	v_mul_u64_e32 v[2:3], s[18:19], v[0:1]
	v_mul_u64_e32 v[4:5], s[26:27], v[0:1]
	s_and_b32 s41, s3, vcc_lo
	s_delay_alu instid0(VALU_DEP_2) | instskip(NEXT) | instid1(VALU_DEP_2)
	v_lshl_add_u64 v[14:15], v[2:3], 4, s[24:25]
	v_lshl_add_u64 v[16:17], v[4:5], 4, v[12:13]
	s_branch .LBB19_10
.LBB19_9:                               ;   in Loop: Header=BB19_10 Depth=3
	s_wait_xcnt 0x0
	s_or_b32 exec_lo, exec_lo, s0
	s_add_co_i32 s42, s42, 32
	s_wait_storecnt 0x0
	s_cmp_ge_i32 s42, s37
	s_barrier_signal -1
	s_barrier_wait -1
	s_cbranch_scc1 .LBB19_6
.LBB19_10:                              ;   Parent Loop BB19_4 Depth=1
                                        ;     Parent Loop BB19_7 Depth=2
                                        ; =>    This Loop Header: Depth=3
                                        ;         Child Loop BB19_16 Depth 4
	v_add_nc_u32_e32 v0, s42, v20
	v_mov_b64_e32 v[4:5], 0
	v_mov_b64_e32 v[6:7], 0
	s_mov_b32 s43, exec_lo
	s_delay_alu instid0(VALU_DEP_3) | instskip(SKIP_1) | instid1(VALU_DEP_1)
	v_cndmask_b32_e64 v1, v0, v8, s2
	v_cndmask_b32_e64 v2, v8, v0, s2
	v_cmp_gt_i32_e64 s0, v1, v2
	s_delay_alu instid0(VALU_DEP_1) | instskip(SKIP_2) | instid1(VALU_DEP_2)
	v_cndmask_b32_e64 v2, v8, v0, s0
	v_cndmask_b32_e64 v18, v0, v8, s0
	v_mov_b64_e32 v[0:1], 0
	v_max_i32_e32 v3, v2, v18
	s_delay_alu instid0(VALU_DEP_1)
	v_cmpx_gt_i32_e64 s37, v3
	s_cbranch_execz .LBB19_12
; %bb.11:                               ;   in Loop: Header=BB19_10 Depth=3
	v_ashrrev_i32_e32 v19, 31, v18
	v_ashrrev_i32_e32 v3, 31, v2
	s_delay_alu instid0(VALU_DEP_2) | instskip(NEXT) | instid1(VALU_DEP_1)
	v_mul_u64_e32 v[4:5], s[10:11], v[18:19]
	v_lshl_add_u64 v[4:5], v[4:5], 4, s[22:23]
	s_delay_alu instid0(VALU_DEP_1)
	v_lshl_add_u64 v[2:3], v[2:3], 4, v[4:5]
	global_load_b128 v[4:7], v[2:3], off
.LBB19_12:                              ;   in Loop: Header=BB19_10 Depth=3
	s_wait_xcnt 0x0
	s_or_b32 exec_lo, exec_lo, s43
	v_add_nc_u32_e32 v18, s42, v21
	v_mov_b64_e32 v[2:3], 0
	s_wait_loadcnt 0x0
	ds_store_b128 v24, v[4:7]
	v_cmp_gt_i32_e64 s0, s37, v18
	s_and_b32 s43, s0, vcc_lo
	s_delay_alu instid0(SALU_CYCLE_1)
	s_and_saveexec_b32 s0, s43
	s_cbranch_execz .LBB19_14
; %bb.13:                               ;   in Loop: Header=BB19_10 Depth=3
	v_ashrrev_i32_e32 v19, 31, v18
	s_delay_alu instid0(VALU_DEP_1)
	v_lshl_add_u64 v[0:1], v[18:19], 4, v[14:15]
	global_load_b128 v[0:3], v[0:1], off
.LBB19_14:                              ;   in Loop: Header=BB19_10 Depth=3
	s_wait_xcnt 0x0
	s_or_b32 exec_lo, exec_lo, s0
	s_wait_loadcnt 0x0
	ds_store_b128 v25, v[0:3]
	s_wait_dscnt 0x0
	s_barrier_signal -1
	s_barrier_wait -1
	s_and_saveexec_b32 s0, s41
	s_cbranch_execz .LBB19_9
; %bb.15:                               ;   in Loop: Header=BB19_10 Depth=3
	v_mov_b64_e32 v[0:1], 0
	v_mov_b64_e32 v[2:3], 0
	v_mov_b32_e32 v4, v23
	s_mov_b32 s43, 0
.LBB19_16:                              ;   Parent Loop BB19_4 Depth=1
                                        ;     Parent Loop BB19_7 Depth=2
                                        ;       Parent Loop BB19_10 Depth=3
                                        ; =>      This Inner Loop Header: Depth=4
	s_delay_alu instid0(SALU_CYCLE_1)
	v_add_nc_u32_e32 v5, s43, v22
	s_addk_co_i32 s43, 0x80
	ds_load_b128 v[26:29], v4
	ds_load_b128 v[30:33], v5
	ds_load_b128 v[34:37], v4 offset:512
	ds_load_b128 v[38:41], v5 offset:16
	s_cmp_eq_u32 s43, 0x200
	s_wait_dscnt 0x2
	v_mul_f64_e32 v[6:7], v[28:29], v[32:33]
	v_mul_f64_e32 v[18:19], v[26:27], v[32:33]
	s_wait_dscnt 0x0
	v_mul_f64_e32 v[48:49], v[36:37], v[40:41]
	v_mul_f64_e32 v[50:51], v[34:35], v[40:41]
	s_delay_alu instid0(VALU_DEP_4) | instskip(NEXT) | instid1(VALU_DEP_4)
	v_fma_f64 v[6:7], v[26:27], v[30:31], -v[6:7]
	v_fmac_f64_e32 v[18:19], v[28:29], v[30:31]
	ds_load_b128 v[26:29], v4 offset:1024
	ds_load_b128 v[30:33], v5 offset:32
	;; [unrolled: 1-line block ×4, first 2 shown]
	v_fmac_f64_e32 v[50:51], v[36:37], v[38:39]
	s_wait_dscnt 0x2
	v_mul_f64_e32 v[52:53], v[28:29], v[32:33]
	v_mul_f64_e32 v[54:55], v[26:27], v[32:33]
	v_fma_f64 v[32:33], v[34:35], v[38:39], -v[48:49]
	v_add_f64_e32 v[0:1], v[0:1], v[6:7]
	v_add_f64_e32 v[2:3], v[2:3], v[18:19]
	s_wait_dscnt 0x0
	v_mul_f64_e32 v[6:7], v[42:43], v[46:47]
	v_mul_f64_e32 v[18:19], v[40:41], v[46:47]
	v_fma_f64 v[38:39], v[26:27], v[30:31], -v[52:53]
	v_fmac_f64_e32 v[54:55], v[28:29], v[30:31]
	v_add_f64_e32 v[46:47], v[0:1], v[32:33]
	v_add_f64_e32 v[48:49], v[2:3], v[50:51]
	ds_load_b128 v[0:3], v4 offset:2048
	ds_load_b128 v[26:29], v5 offset:64
	;; [unrolled: 1-line block ×4, first 2 shown]
	v_fma_f64 v[6:7], v[40:41], v[44:45], -v[6:7]
	v_fmac_f64_e32 v[18:19], v[42:43], v[44:45]
	s_wait_dscnt 0x2
	v_mul_f64_e32 v[50:51], v[2:3], v[28:29]
	v_mul_f64_e32 v[52:53], v[0:1], v[28:29]
	s_wait_dscnt 0x0
	v_mul_f64_e32 v[44:45], v[32:33], v[36:37]
	v_add_f64_e32 v[28:29], v[46:47], v[38:39]
	v_add_f64_e32 v[38:39], v[48:49], v[54:55]
	v_mul_f64_e32 v[46:47], v[30:31], v[36:37]
	v_fma_f64 v[48:49], v[0:1], v[26:27], -v[50:51]
	v_fmac_f64_e32 v[52:53], v[2:3], v[26:27]
	v_fma_f64 v[30:31], v[30:31], v[34:35], -v[44:45]
	v_add_f64_e32 v[6:7], v[28:29], v[6:7]
	v_add_f64_e32 v[18:19], v[38:39], v[18:19]
	ds_load_b128 v[0:3], v4 offset:3072
	ds_load_b128 v[26:29], v5 offset:96
	;; [unrolled: 1-line block ×4, first 2 shown]
	v_fmac_f64_e32 v[46:47], v[32:33], v[34:35]
	v_add_nc_u32_e32 v4, 0x1000, v4
	s_wait_dscnt 0x2
	v_mul_f64_e32 v[50:51], v[2:3], v[28:29]
	v_mul_f64_e32 v[28:29], v[0:1], v[28:29]
	s_wait_dscnt 0x0
	v_mul_f64_e32 v[32:33], v[38:39], v[42:43]
	v_mul_f64_e32 v[34:35], v[36:37], v[42:43]
	v_add_f64_e32 v[6:7], v[6:7], v[48:49]
	v_add_f64_e32 v[18:19], v[18:19], v[52:53]
	v_fma_f64 v[0:1], v[0:1], v[26:27], -v[50:51]
	v_fmac_f64_e32 v[28:29], v[2:3], v[26:27]
	v_fmac_f64_e32 v[34:35], v[38:39], v[40:41]
	v_add_f64_e32 v[2:3], v[6:7], v[30:31]
	v_add_f64_e32 v[6:7], v[18:19], v[46:47]
	v_fma_f64 v[18:19], v[36:37], v[40:41], -v[32:33]
	s_delay_alu instid0(VALU_DEP_3) | instskip(NEXT) | instid1(VALU_DEP_3)
	v_add_f64_e32 v[0:1], v[2:3], v[0:1]
	v_add_f64_e32 v[2:3], v[6:7], v[28:29]
	s_delay_alu instid0(VALU_DEP_2) | instskip(NEXT) | instid1(VALU_DEP_2)
	v_add_f64_e32 v[0:1], v[0:1], v[18:19]
	v_add_f64_e32 v[2:3], v[2:3], v[34:35]
	s_cbranch_scc0 .LBB19_16
; %bb.17:                               ;   in Loop: Header=BB19_10 Depth=3
	global_load_b128 v[4:7], v[16:17], off
	v_mul_f64_e32 v[18:19], s[30:31], v[2:3]
	v_mul_f64_e32 v[26:27], s[30:31], v[0:1]
	s_delay_alu instid0(VALU_DEP_2) | instskip(NEXT) | instid1(VALU_DEP_2)
	v_fma_f64 v[0:1], s[28:29], v[0:1], -v[18:19]
	v_fmac_f64_e32 v[26:27], s[28:29], v[2:3]
	s_wait_loadcnt 0x0
	s_delay_alu instid0(VALU_DEP_2) | instskip(NEXT) | instid1(VALU_DEP_2)
	v_add_f64_e32 v[0:1], v[0:1], v[4:5]
	v_add_f64_e32 v[2:3], v[26:27], v[6:7]
	global_store_b128 v[16:17], v[0:3], off
	s_branch .LBB19_9
.LBB19_18:
	s_endpgm
	.section	.rodata,"a",@progbits
	.p2align	6, 0x0
	.amdhsa_kernel _ZL24rocblas_symm_hemm_kernelILb0ELb0ELi32EPK19rocblas_complex_numIdES3_PS1_EvbiiT2_T3_lllS6_lllT4_llli
		.amdhsa_group_segment_fixed_size 32768
		.amdhsa_private_segment_fixed_size 0
		.amdhsa_kernarg_size 384
		.amdhsa_user_sgpr_count 2
		.amdhsa_user_sgpr_dispatch_ptr 0
		.amdhsa_user_sgpr_queue_ptr 0
		.amdhsa_user_sgpr_kernarg_segment_ptr 1
		.amdhsa_user_sgpr_dispatch_id 0
		.amdhsa_user_sgpr_kernarg_preload_length 0
		.amdhsa_user_sgpr_kernarg_preload_offset 0
		.amdhsa_user_sgpr_private_segment_size 0
		.amdhsa_wavefront_size32 1
		.amdhsa_uses_dynamic_stack 0
		.amdhsa_enable_private_segment 0
		.amdhsa_system_sgpr_workgroup_id_x 1
		.amdhsa_system_sgpr_workgroup_id_y 1
		.amdhsa_system_sgpr_workgroup_id_z 1
		.amdhsa_system_sgpr_workgroup_info 0
		.amdhsa_system_vgpr_workitem_id 1
		.amdhsa_next_free_vgpr 56
		.amdhsa_next_free_sgpr 44
		.amdhsa_named_barrier_count 0
		.amdhsa_reserve_vcc 1
		.amdhsa_float_round_mode_32 0
		.amdhsa_float_round_mode_16_64 0
		.amdhsa_float_denorm_mode_32 3
		.amdhsa_float_denorm_mode_16_64 3
		.amdhsa_fp16_overflow 0
		.amdhsa_memory_ordered 1
		.amdhsa_forward_progress 1
		.amdhsa_inst_pref_size 11
		.amdhsa_round_robin_scheduling 0
		.amdhsa_exception_fp_ieee_invalid_op 0
		.amdhsa_exception_fp_denorm_src 0
		.amdhsa_exception_fp_ieee_div_zero 0
		.amdhsa_exception_fp_ieee_overflow 0
		.amdhsa_exception_fp_ieee_underflow 0
		.amdhsa_exception_fp_ieee_inexact 0
		.amdhsa_exception_int_div_zero 0
	.end_amdhsa_kernel
	.section	.text._ZL24rocblas_symm_hemm_kernelILb0ELb0ELi32EPK19rocblas_complex_numIdES3_PS1_EvbiiT2_T3_lllS6_lllT4_llli,"axG",@progbits,_ZL24rocblas_symm_hemm_kernelILb0ELb0ELi32EPK19rocblas_complex_numIdES3_PS1_EvbiiT2_T3_lllS6_lllT4_llli,comdat
.Lfunc_end19:
	.size	_ZL24rocblas_symm_hemm_kernelILb0ELb0ELi32EPK19rocblas_complex_numIdES3_PS1_EvbiiT2_T3_lllS6_lllT4_llli, .Lfunc_end19-_ZL24rocblas_symm_hemm_kernelILb0ELb0ELi32EPK19rocblas_complex_numIdES3_PS1_EvbiiT2_T3_lllS6_lllT4_llli
                                        ; -- End function
	.set _ZL24rocblas_symm_hemm_kernelILb0ELb0ELi32EPK19rocblas_complex_numIdES3_PS1_EvbiiT2_T3_lllS6_lllT4_llli.num_vgpr, 56
	.set _ZL24rocblas_symm_hemm_kernelILb0ELb0ELi32EPK19rocblas_complex_numIdES3_PS1_EvbiiT2_T3_lllS6_lllT4_llli.num_agpr, 0
	.set _ZL24rocblas_symm_hemm_kernelILb0ELb0ELi32EPK19rocblas_complex_numIdES3_PS1_EvbiiT2_T3_lllS6_lllT4_llli.numbered_sgpr, 44
	.set _ZL24rocblas_symm_hemm_kernelILb0ELb0ELi32EPK19rocblas_complex_numIdES3_PS1_EvbiiT2_T3_lllS6_lllT4_llli.num_named_barrier, 0
	.set _ZL24rocblas_symm_hemm_kernelILb0ELb0ELi32EPK19rocblas_complex_numIdES3_PS1_EvbiiT2_T3_lllS6_lllT4_llli.private_seg_size, 0
	.set _ZL24rocblas_symm_hemm_kernelILb0ELb0ELi32EPK19rocblas_complex_numIdES3_PS1_EvbiiT2_T3_lllS6_lllT4_llli.uses_vcc, 1
	.set _ZL24rocblas_symm_hemm_kernelILb0ELb0ELi32EPK19rocblas_complex_numIdES3_PS1_EvbiiT2_T3_lllS6_lllT4_llli.uses_flat_scratch, 0
	.set _ZL24rocblas_symm_hemm_kernelILb0ELb0ELi32EPK19rocblas_complex_numIdES3_PS1_EvbiiT2_T3_lllS6_lllT4_llli.has_dyn_sized_stack, 0
	.set _ZL24rocblas_symm_hemm_kernelILb0ELb0ELi32EPK19rocblas_complex_numIdES3_PS1_EvbiiT2_T3_lllS6_lllT4_llli.has_recursion, 0
	.set _ZL24rocblas_symm_hemm_kernelILb0ELb0ELi32EPK19rocblas_complex_numIdES3_PS1_EvbiiT2_T3_lllS6_lllT4_llli.has_indirect_call, 0
	.section	.AMDGPU.csdata,"",@progbits
; Kernel info:
; codeLenInByte = 1372
; TotalNumSgprs: 46
; NumVgprs: 56
; ScratchSize: 0
; MemoryBound: 1
; FloatMode: 240
; IeeeMode: 1
; LDSByteSize: 32768 bytes/workgroup (compile time only)
; SGPRBlocks: 0
; VGPRBlocks: 3
; NumSGPRsForWavesPerEU: 46
; NumVGPRsForWavesPerEU: 56
; NamedBarCnt: 0
; Occupancy: 16
; WaveLimiterHint : 1
; COMPUTE_PGM_RSRC2:SCRATCH_EN: 0
; COMPUTE_PGM_RSRC2:USER_SGPR: 2
; COMPUTE_PGM_RSRC2:TRAP_HANDLER: 0
; COMPUTE_PGM_RSRC2:TGID_X_EN: 1
; COMPUTE_PGM_RSRC2:TGID_Y_EN: 1
; COMPUTE_PGM_RSRC2:TGID_Z_EN: 1
; COMPUTE_PGM_RSRC2:TIDIG_COMP_CNT: 1
	.section	.text._ZL24rocblas_symm_hemm_kernelILb0ELb1ELi32EPK19rocblas_complex_numIdES3_PS1_EvbiiT2_T3_lllS6_lllT4_llli,"axG",@progbits,_ZL24rocblas_symm_hemm_kernelILb0ELb1ELi32EPK19rocblas_complex_numIdES3_PS1_EvbiiT2_T3_lllS6_lllT4_llli,comdat
	.globl	_ZL24rocblas_symm_hemm_kernelILb0ELb1ELi32EPK19rocblas_complex_numIdES3_PS1_EvbiiT2_T3_lllS6_lllT4_llli ; -- Begin function _ZL24rocblas_symm_hemm_kernelILb0ELb1ELi32EPK19rocblas_complex_numIdES3_PS1_EvbiiT2_T3_lllS6_lllT4_llli
	.p2align	8
	.type	_ZL24rocblas_symm_hemm_kernelILb0ELb1ELi32EPK19rocblas_complex_numIdES3_PS1_EvbiiT2_T3_lllS6_lllT4_llli,@function
_ZL24rocblas_symm_hemm_kernelILb0ELb1ELi32EPK19rocblas_complex_numIdES3_PS1_EvbiiT2_T3_lllS6_lllT4_llli: ; @_ZL24rocblas_symm_hemm_kernelILb0ELb1ELi32EPK19rocblas_complex_numIdES3_PS1_EvbiiT2_T3_lllS6_lllT4_llli
; %bb.0:
	s_load_b512 s[4:19], s[0:1], 0x10
	s_wait_kmcnt 0x0
	s_load_b128 s[28:31], s[4:5], 0x0
	s_wait_kmcnt 0x0
	v_cmp_eq_f64_e64 s2, s[28:29], 0
	v_cmp_eq_f64_e64 s3, s[30:31], 0
	s_and_b32 s2, s2, s3
	s_delay_alu instid0(SALU_CYCLE_1)
	s_and_b32 vcc_lo, exec_lo, s2
	s_cbranch_vccnz .LBB20_18
; %bb.1:
	s_load_b32 s33, s[0:1], 0x78
	s_bfe_u32 s2, ttmp6, 0x40014
	s_lshr_b32 s4, ttmp7, 16
	s_add_co_i32 s2, s2, 1
	s_bfe_u32 s5, ttmp6, 0x40008
	s_mul_i32 s2, s4, s2
	s_getreg_b32 s3, hwreg(HW_REG_IB_STS2, 6, 4)
	s_add_co_i32 s5, s5, s2
	s_cmp_eq_u32 s3, 0
	s_cselect_b32 s4, s4, s5
	s_mov_b32 s5, 0
	s_wait_kmcnt 0x0
	s_cmp_ge_u32 s4, s33
	s_cbranch_scc1 .LBB20_18
; %bb.2:
	s_clause 0x1
	s_load_b96 s[36:38], s[0:1], 0x0
	s_load_b256 s[20:27], s[0:1], 0x50
	s_lshl_b64 s[34:35], s[8:9], 4
	v_and_b32_e32 v24, 0x3ff, v0
	v_bfe_u32 v25, v0, 10, 10
	s_add_nc_u64 s[6:7], s[6:7], s[34:35]
	s_delay_alu instid0(VALU_DEP_1) | instskip(NEXT) | instid1(VALU_DEP_1)
	v_dual_lshlrev_b32 v26, 9, v24 :: v_dual_lshlrev_b32 v2, 4, v25
	v_or_b32_e32 v27, 0x4000, v2
	s_delay_alu instid0(VALU_DEP_2) | instskip(NEXT) | instid1(VALU_DEP_2)
	v_add_nc_u32_e32 v28, v26, v2
	v_add_nc_u32_e32 v29, v27, v26
	s_wait_kmcnt 0x0
	s_bitcmp1_b32 s36, 0
	s_cselect_b32 s2, -1, 0
	s_add_co_i32 s8, s38, -1
	s_lshl_b64 s[40:41], s[16:17], 4
	s_bfe_u32 s16, ttmp6, 0x4000c
	s_bfe_u32 s36, ttmp6, 0x40010
	s_ashr_i32 s42, s8, 31
	s_and_b32 s17, ttmp7, 0xffff
	s_add_co_i32 s16, s16, 1
	s_add_co_i32 s36, s36, 1
	s_lshr_b32 s42, s42, 27
	s_and_b32 s9, ttmp6, 15
	s_bfe_u32 s39, ttmp6, 0x40004
	s_mul_i32 s16, ttmp9, s16
	s_mul_i32 s36, s17, s36
	s_add_co_i32 s8, s8, s42
	s_lshl_b64 s[24:25], s[24:25], 4
	s_add_co_i32 s9, s9, s16
	s_add_co_i32 s39, s39, s36
	s_ashr_i32 s16, s8, 5
	s_cmp_eq_u32 s3, 0
	s_add_nc_u64 s[14:15], s[14:15], s[40:41]
	s_cselect_b32 s3, ttmp9, s9
	s_load_b64 s[8:9], s[0:1], 0x70
	v_lshl_add_u32 v0, s3, 5, v24
	s_add_nc_u64 s[24:25], s[22:23], s[24:25]
	s_cselect_b32 s17, s17, s39
	s_wait_xcnt 0x0
	s_add_nc_u64 s[0:1], s[0:1], 0x80
	s_cmp_le_i32 s17, s16
	v_ashrrev_i32_e32 v1, 31, v0
	v_cmp_gt_i32_e64 s3, s37, v0
	s_cselect_b32 s22, -1, 0
	s_cmp_gt_i32 s38, 0
	v_lshlrev_b64_e32 v[2:3], 4, v[0:1]
	s_cselect_b32 s23, -1, 0
	s_delay_alu instid0(VALU_DEP_1)
	v_add_nc_u64_e32 v[8:9], s[14:15], v[2:3]
	v_add_nc_u64_e32 v[10:11], s[24:25], v[2:3]
	s_branch .LBB20_4
.LBB20_3:                               ;   in Loop: Header=BB20_4 Depth=1
	s_add_co_i32 s4, s4, 0x10000
	s_delay_alu instid0(SALU_CYCLE_1)
	s_cmp_lt_u32 s4, s33
	s_cbranch_scc0 .LBB20_18
.LBB20_4:                               ; =>This Loop Header: Depth=1
                                        ;     Child Loop BB20_7 Depth 2
                                        ;       Child Loop BB20_10 Depth 3
                                        ;         Child Loop BB20_16 Depth 4
	s_and_not1_b32 vcc_lo, exec_lo, s22
	s_cbranch_vccnz .LBB20_3
; %bb.5:                                ;   in Loop: Header=BB20_4 Depth=1
	s_load_b32 s24, s[0:1], 0x4
	s_mul_u64 s[34:35], s[20:21], s[4:5]
	s_wait_kmcnt 0x0
	s_mul_u64 s[36:37], s[8:9], s[4:5]
	s_mul_u64 s[14:15], s[12:13], s[4:5]
	v_lshl_add_u64 v[12:13], s[34:35], 4, v[8:9]
	v_lshl_add_u64 v[14:15], s[36:37], 4, v[10:11]
	s_lshl_b64 s[14:15], s[14:15], 4
	s_mov_b32 s25, s17
	s_add_nc_u64 s[14:15], s[6:7], s[14:15]
	s_branch .LBB20_7
.LBB20_6:                               ;   in Loop: Header=BB20_7 Depth=2
	s_add_co_i32 s25, s25, s24
	s_delay_alu instid0(SALU_CYCLE_1)
	s_cmp_gt_i32 s25, s16
	s_cbranch_scc1 .LBB20_3
.LBB20_7:                               ;   Parent Loop BB20_4 Depth=1
                                        ; =>  This Loop Header: Depth=2
                                        ;       Child Loop BB20_10 Depth 3
                                        ;         Child Loop BB20_16 Depth 4
	s_and_not1_b32 vcc_lo, exec_lo, s23
	s_cbranch_vccnz .LBB20_6
; %bb.8:                                ;   in Loop: Header=BB20_7 Depth=2
	v_lshl_add_u32 v16, s25, 5, v25
	s_mov_b32 s35, 0
	s_delay_alu instid0(VALU_DEP_1) | instskip(SKIP_1) | instid1(VALU_DEP_2)
	v_ashrrev_i32_e32 v17, 31, v16
	v_cmp_gt_i32_e32 vcc_lo, s38, v16
	v_mul_u64_e32 v[0:1], s[26:27], v[16:17]
	s_and_b32 s34, s3, vcc_lo
	s_delay_alu instid0(VALU_DEP_1)
	v_lshl_add_u64 v[18:19], v[0:1], 4, v[14:15]
	s_branch .LBB20_10
.LBB20_9:                               ;   in Loop: Header=BB20_10 Depth=3
	s_wait_xcnt 0x0
	s_or_b32 exec_lo, exec_lo, s36
	s_add_co_i32 s35, s35, 32
	s_wait_storecnt 0x0
	s_cmp_ge_i32 s35, s38
	s_barrier_signal -1
	s_barrier_wait -1
	s_cbranch_scc1 .LBB20_6
.LBB20_10:                              ;   Parent Loop BB20_4 Depth=1
                                        ;     Parent Loop BB20_7 Depth=2
                                        ; =>    This Loop Header: Depth=3
                                        ;         Child Loop BB20_16 Depth 4
	v_add_nc_u32_e32 v2, s35, v25
	v_mov_b64_e32 v[0:1], 0
	v_mov_b64_e32 v[4:5], 0
	;; [unrolled: 1-line block ×3, first 2 shown]
	s_delay_alu instid0(VALU_DEP_4) | instskip(SKIP_1) | instid1(SALU_CYCLE_1)
	v_cmp_gt_i32_e32 vcc_lo, s38, v2
	s_and_b32 s37, s3, vcc_lo
	s_and_saveexec_b32 s36, s37
	s_cbranch_execz .LBB20_12
; %bb.11:                               ;   in Loop: Header=BB20_10 Depth=3
	v_ashrrev_i32_e32 v3, 31, v2
	s_delay_alu instid0(VALU_DEP_1) | instskip(NEXT) | instid1(VALU_DEP_1)
	v_mul_u64_e32 v[2:3], s[18:19], v[2:3]
	v_lshl_add_u64 v[2:3], v[2:3], 4, v[12:13]
	global_load_b128 v[4:7], v[2:3], off
.LBB20_12:                              ;   in Loop: Header=BB20_10 Depth=3
	s_wait_xcnt 0x0
	s_or_b32 exec_lo, exec_lo, s36
	v_add_nc_u32_e32 v2, s35, v24
	s_mov_b32 s36, exec_lo
	s_wait_loadcnt 0x0
	ds_store_b128 v28, v[4:7]
	v_dual_cndmask_b32 v3, v16, v2, s2 :: v_dual_cndmask_b32 v17, v2, v16, s2
	s_delay_alu instid0(VALU_DEP_1) | instskip(SKIP_2) | instid1(VALU_DEP_2)
	v_cmp_gt_i32_e32 vcc_lo, v3, v17
	v_dual_cndmask_b32 v20, v2, v16, vcc_lo :: v_dual_cndmask_b32 v22, v16, v2, vcc_lo
	v_mov_b64_e32 v[2:3], 0
	v_max_i32_e32 v17, v20, v22
	s_delay_alu instid0(VALU_DEP_1)
	v_cmpx_gt_i32_e64 s38, v17
	s_cbranch_execz .LBB20_14
; %bb.13:                               ;   in Loop: Header=BB20_10 Depth=3
	v_dual_ashrrev_i32 v23, 31, v22 :: v_dual_ashrrev_i32 v21, 31, v20
	s_delay_alu instid0(VALU_DEP_1) | instskip(NEXT) | instid1(VALU_DEP_1)
	v_mul_u64_e32 v[0:1], s[10:11], v[22:23]
	v_lshl_add_u64 v[0:1], v[0:1], 4, s[14:15]
	s_delay_alu instid0(VALU_DEP_1)
	v_lshl_add_u64 v[0:1], v[20:21], 4, v[0:1]
	global_load_b128 v[0:3], v[0:1], off
.LBB20_14:                              ;   in Loop: Header=BB20_10 Depth=3
	s_wait_xcnt 0x0
	s_or_b32 exec_lo, exec_lo, s36
	s_wait_loadcnt 0x0
	ds_store_b128 v29, v[0:3]
	s_wait_dscnt 0x0
	s_barrier_signal -1
	s_barrier_wait -1
	s_and_saveexec_b32 s36, s34
	s_cbranch_execz .LBB20_9
; %bb.15:                               ;   in Loop: Header=BB20_10 Depth=3
	v_mov_b64_e32 v[0:1], 0
	v_mov_b64_e32 v[2:3], 0
	v_mov_b32_e32 v4, v27
	s_mov_b32 s37, 0
.LBB20_16:                              ;   Parent Loop BB20_4 Depth=1
                                        ;     Parent Loop BB20_7 Depth=2
                                        ;       Parent Loop BB20_10 Depth=3
                                        ; =>      This Inner Loop Header: Depth=4
	s_delay_alu instid0(SALU_CYCLE_1)
	v_add_nc_u32_e32 v5, s37, v26
	s_addk_co_i32 s37, 0x80
	ds_load_b128 v[20:23], v4
	ds_load_b128 v[30:33], v5
	ds_load_b128 v[34:37], v4 offset:512
	ds_load_b128 v[38:41], v5 offset:16
	s_cmp_eq_u32 s37, 0x200
	s_wait_dscnt 0x2
	v_mul_f64_e32 v[6:7], v[22:23], v[32:33]
	v_mul_f64_e32 v[48:49], v[20:21], v[32:33]
	s_wait_dscnt 0x0
	v_mul_f64_e32 v[50:51], v[36:37], v[40:41]
	v_mul_f64_e32 v[52:53], v[34:35], v[40:41]
	s_delay_alu instid0(VALU_DEP_4) | instskip(NEXT) | instid1(VALU_DEP_4)
	v_fma_f64 v[6:7], v[20:21], v[30:31], -v[6:7]
	v_fmac_f64_e32 v[48:49], v[22:23], v[30:31]
	ds_load_b128 v[20:23], v4 offset:1024
	ds_load_b128 v[30:33], v5 offset:32
	;; [unrolled: 1-line block ×4, first 2 shown]
	v_fmac_f64_e32 v[52:53], v[36:37], v[38:39]
	s_wait_dscnt 0x2
	v_mul_f64_e32 v[54:55], v[22:23], v[32:33]
	v_mul_f64_e32 v[56:57], v[20:21], v[32:33]
	v_fma_f64 v[32:33], v[34:35], v[38:39], -v[50:51]
	s_wait_dscnt 0x0
	v_mul_f64_e32 v[38:39], v[40:41], v[46:47]
	v_add_f64_e32 v[0:1], v[0:1], v[6:7]
	v_add_f64_e32 v[2:3], v[2:3], v[48:49]
	v_mul_f64_e32 v[6:7], v[42:43], v[46:47]
	v_fma_f64 v[46:47], v[20:21], v[30:31], -v[54:55]
	v_fmac_f64_e32 v[56:57], v[22:23], v[30:31]
	v_fmac_f64_e32 v[38:39], v[42:43], v[44:45]
	v_add_f64_e32 v[48:49], v[0:1], v[32:33]
	v_add_f64_e32 v[50:51], v[2:3], v[52:53]
	ds_load_b128 v[0:3], v4 offset:2048
	ds_load_b128 v[20:23], v5 offset:64
	;; [unrolled: 1-line block ×4, first 2 shown]
	v_fma_f64 v[6:7], v[40:41], v[44:45], -v[6:7]
	s_wait_dscnt 0x2
	v_mul_f64_e32 v[52:53], v[2:3], v[22:23]
	v_mul_f64_e32 v[54:55], v[0:1], v[22:23]
	s_wait_dscnt 0x0
	v_mul_f64_e32 v[44:45], v[32:33], v[36:37]
	v_add_f64_e32 v[22:23], v[48:49], v[46:47]
	v_add_f64_e32 v[40:41], v[50:51], v[56:57]
	v_mul_f64_e32 v[46:47], v[30:31], v[36:37]
	v_fma_f64 v[48:49], v[0:1], v[20:21], -v[52:53]
	v_fmac_f64_e32 v[54:55], v[2:3], v[20:21]
	v_fma_f64 v[30:31], v[30:31], v[34:35], -v[44:45]
	v_add_f64_e32 v[6:7], v[22:23], v[6:7]
	v_add_f64_e32 v[50:51], v[40:41], v[38:39]
	ds_load_b128 v[0:3], v4 offset:3072
	ds_load_b128 v[20:23], v5 offset:96
	;; [unrolled: 1-line block ×4, first 2 shown]
	v_fmac_f64_e32 v[46:47], v[32:33], v[34:35]
	v_add_nc_u32_e32 v4, 0x1000, v4
	s_wait_dscnt 0x2
	v_mul_f64_e32 v[52:53], v[2:3], v[22:23]
	v_mul_f64_e32 v[22:23], v[0:1], v[22:23]
	s_wait_dscnt 0x0
	v_mul_f64_e32 v[34:35], v[38:39], v[42:43]
	v_mul_f64_e32 v[42:43], v[36:37], v[42:43]
	v_add_f64_e32 v[6:7], v[6:7], v[48:49]
	v_add_f64_e32 v[32:33], v[50:51], v[54:55]
	v_fma_f64 v[0:1], v[0:1], v[20:21], -v[52:53]
	v_fmac_f64_e32 v[22:23], v[2:3], v[20:21]
	v_fma_f64 v[20:21], v[36:37], v[40:41], -v[34:35]
	v_fmac_f64_e32 v[42:43], v[38:39], v[40:41]
	v_add_f64_e32 v[2:3], v[6:7], v[30:31]
	v_add_f64_e32 v[6:7], v[32:33], v[46:47]
	s_delay_alu instid0(VALU_DEP_2) | instskip(NEXT) | instid1(VALU_DEP_2)
	v_add_f64_e32 v[0:1], v[2:3], v[0:1]
	v_add_f64_e32 v[2:3], v[6:7], v[22:23]
	s_delay_alu instid0(VALU_DEP_2) | instskip(NEXT) | instid1(VALU_DEP_2)
	v_add_f64_e32 v[0:1], v[0:1], v[20:21]
	v_add_f64_e32 v[2:3], v[2:3], v[42:43]
	s_cbranch_scc0 .LBB20_16
; %bb.17:                               ;   in Loop: Header=BB20_10 Depth=3
	global_load_b128 v[4:7], v[18:19], off
	v_mul_f64_e32 v[20:21], s[30:31], v[2:3]
	v_mul_f64_e32 v[22:23], s[30:31], v[0:1]
	s_delay_alu instid0(VALU_DEP_2) | instskip(NEXT) | instid1(VALU_DEP_2)
	v_fma_f64 v[0:1], s[28:29], v[0:1], -v[20:21]
	v_fmac_f64_e32 v[22:23], s[28:29], v[2:3]
	s_wait_loadcnt 0x0
	s_delay_alu instid0(VALU_DEP_2) | instskip(NEXT) | instid1(VALU_DEP_2)
	v_add_f64_e32 v[0:1], v[0:1], v[4:5]
	v_add_f64_e32 v[2:3], v[22:23], v[6:7]
	global_store_b128 v[18:19], v[0:3], off
	s_branch .LBB20_9
.LBB20_18:
	s_endpgm
	.section	.rodata,"a",@progbits
	.p2align	6, 0x0
	.amdhsa_kernel _ZL24rocblas_symm_hemm_kernelILb0ELb1ELi32EPK19rocblas_complex_numIdES3_PS1_EvbiiT2_T3_lllS6_lllT4_llli
		.amdhsa_group_segment_fixed_size 32768
		.amdhsa_private_segment_fixed_size 0
		.amdhsa_kernarg_size 384
		.amdhsa_user_sgpr_count 2
		.amdhsa_user_sgpr_dispatch_ptr 0
		.amdhsa_user_sgpr_queue_ptr 0
		.amdhsa_user_sgpr_kernarg_segment_ptr 1
		.amdhsa_user_sgpr_dispatch_id 0
		.amdhsa_user_sgpr_kernarg_preload_length 0
		.amdhsa_user_sgpr_kernarg_preload_offset 0
		.amdhsa_user_sgpr_private_segment_size 0
		.amdhsa_wavefront_size32 1
		.amdhsa_uses_dynamic_stack 0
		.amdhsa_enable_private_segment 0
		.amdhsa_system_sgpr_workgroup_id_x 1
		.amdhsa_system_sgpr_workgroup_id_y 1
		.amdhsa_system_sgpr_workgroup_id_z 1
		.amdhsa_system_sgpr_workgroup_info 0
		.amdhsa_system_vgpr_workitem_id 1
		.amdhsa_next_free_vgpr 58
		.amdhsa_next_free_sgpr 43
		.amdhsa_named_barrier_count 0
		.amdhsa_reserve_vcc 1
		.amdhsa_float_round_mode_32 0
		.amdhsa_float_round_mode_16_64 0
		.amdhsa_float_denorm_mode_32 3
		.amdhsa_float_denorm_mode_16_64 3
		.amdhsa_fp16_overflow 0
		.amdhsa_memory_ordered 1
		.amdhsa_forward_progress 1
		.amdhsa_inst_pref_size 11
		.amdhsa_round_robin_scheduling 0
		.amdhsa_exception_fp_ieee_invalid_op 0
		.amdhsa_exception_fp_denorm_src 0
		.amdhsa_exception_fp_ieee_div_zero 0
		.amdhsa_exception_fp_ieee_overflow 0
		.amdhsa_exception_fp_ieee_underflow 0
		.amdhsa_exception_fp_ieee_inexact 0
		.amdhsa_exception_int_div_zero 0
	.end_amdhsa_kernel
	.section	.text._ZL24rocblas_symm_hemm_kernelILb0ELb1ELi32EPK19rocblas_complex_numIdES3_PS1_EvbiiT2_T3_lllS6_lllT4_llli,"axG",@progbits,_ZL24rocblas_symm_hemm_kernelILb0ELb1ELi32EPK19rocblas_complex_numIdES3_PS1_EvbiiT2_T3_lllS6_lllT4_llli,comdat
.Lfunc_end20:
	.size	_ZL24rocblas_symm_hemm_kernelILb0ELb1ELi32EPK19rocblas_complex_numIdES3_PS1_EvbiiT2_T3_lllS6_lllT4_llli, .Lfunc_end20-_ZL24rocblas_symm_hemm_kernelILb0ELb1ELi32EPK19rocblas_complex_numIdES3_PS1_EvbiiT2_T3_lllS6_lllT4_llli
                                        ; -- End function
	.set _ZL24rocblas_symm_hemm_kernelILb0ELb1ELi32EPK19rocblas_complex_numIdES3_PS1_EvbiiT2_T3_lllS6_lllT4_llli.num_vgpr, 58
	.set _ZL24rocblas_symm_hemm_kernelILb0ELb1ELi32EPK19rocblas_complex_numIdES3_PS1_EvbiiT2_T3_lllS6_lllT4_llli.num_agpr, 0
	.set _ZL24rocblas_symm_hemm_kernelILb0ELb1ELi32EPK19rocblas_complex_numIdES3_PS1_EvbiiT2_T3_lllS6_lllT4_llli.numbered_sgpr, 43
	.set _ZL24rocblas_symm_hemm_kernelILb0ELb1ELi32EPK19rocblas_complex_numIdES3_PS1_EvbiiT2_T3_lllS6_lllT4_llli.num_named_barrier, 0
	.set _ZL24rocblas_symm_hemm_kernelILb0ELb1ELi32EPK19rocblas_complex_numIdES3_PS1_EvbiiT2_T3_lllS6_lllT4_llli.private_seg_size, 0
	.set _ZL24rocblas_symm_hemm_kernelILb0ELb1ELi32EPK19rocblas_complex_numIdES3_PS1_EvbiiT2_T3_lllS6_lllT4_llli.uses_vcc, 1
	.set _ZL24rocblas_symm_hemm_kernelILb0ELb1ELi32EPK19rocblas_complex_numIdES3_PS1_EvbiiT2_T3_lllS6_lllT4_llli.uses_flat_scratch, 0
	.set _ZL24rocblas_symm_hemm_kernelILb0ELb1ELi32EPK19rocblas_complex_numIdES3_PS1_EvbiiT2_T3_lllS6_lllT4_llli.has_dyn_sized_stack, 0
	.set _ZL24rocblas_symm_hemm_kernelILb0ELb1ELi32EPK19rocblas_complex_numIdES3_PS1_EvbiiT2_T3_lllS6_lllT4_llli.has_recursion, 0
	.set _ZL24rocblas_symm_hemm_kernelILb0ELb1ELi32EPK19rocblas_complex_numIdES3_PS1_EvbiiT2_T3_lllS6_lllT4_llli.has_indirect_call, 0
	.section	.AMDGPU.csdata,"",@progbits
; Kernel info:
; codeLenInByte = 1348
; TotalNumSgprs: 45
; NumVgprs: 58
; ScratchSize: 0
; MemoryBound: 1
; FloatMode: 240
; IeeeMode: 1
; LDSByteSize: 32768 bytes/workgroup (compile time only)
; SGPRBlocks: 0
; VGPRBlocks: 3
; NumSGPRsForWavesPerEU: 45
; NumVGPRsForWavesPerEU: 58
; NamedBarCnt: 0
; Occupancy: 16
; WaveLimiterHint : 1
; COMPUTE_PGM_RSRC2:SCRATCH_EN: 0
; COMPUTE_PGM_RSRC2:USER_SGPR: 2
; COMPUTE_PGM_RSRC2:TRAP_HANDLER: 0
; COMPUTE_PGM_RSRC2:TGID_X_EN: 1
; COMPUTE_PGM_RSRC2:TGID_Y_EN: 1
; COMPUTE_PGM_RSRC2:TGID_Z_EN: 1
; COMPUTE_PGM_RSRC2:TIDIG_COMP_CNT: 1
	.section	.text._ZL25rocblas_symm_scale_kernelILi128ELi8E19rocblas_complex_numIdEPS1_EviiT1_T2_llli,"axG",@progbits,_ZL25rocblas_symm_scale_kernelILi128ELi8E19rocblas_complex_numIdEPS1_EviiT1_T2_llli,comdat
	.globl	_ZL25rocblas_symm_scale_kernelILi128ELi8E19rocblas_complex_numIdEPS1_EviiT1_T2_llli ; -- Begin function _ZL25rocblas_symm_scale_kernelILi128ELi8E19rocblas_complex_numIdEPS1_EviiT1_T2_llli
	.p2align	8
	.type	_ZL25rocblas_symm_scale_kernelILi128ELi8E19rocblas_complex_numIdEPS1_EviiT1_T2_llli,@function
_ZL25rocblas_symm_scale_kernelILi128ELi8E19rocblas_complex_numIdEPS1_EviiT1_T2_llli: ; @_ZL25rocblas_symm_scale_kernelILi128ELi8E19rocblas_complex_numIdEPS1_EviiT1_T2_llli
; %bb.0:
	s_load_b256 s[4:11], s[0:1], 0x8
	s_wait_kmcnt 0x0
	v_cmp_eq_f64_e64 s2, s[4:5], 1.0
	v_cmp_eq_f64_e64 s3, s[6:7], 0
	s_and_b32 s2, s2, s3
	s_delay_alu instid0(SALU_CYCLE_1)
	s_and_b32 vcc_lo, exec_lo, s2
	s_cbranch_vccnz .LBB21_9
; %bb.1:
	s_load_b32 s16, s[0:1], 0x38
	s_bfe_u32 s2, ttmp6, 0x40014
	s_lshr_b32 s3, ttmp7, 16
	s_add_co_i32 s2, s2, 1
	s_bfe_u32 s13, ttmp6, 0x40008
	s_mul_i32 s12, s3, s2
	s_getreg_b32 s2, hwreg(HW_REG_IB_STS2, 6, 4)
	s_add_co_i32 s13, s13, s12
	s_cmp_eq_u32 s2, 0
	s_cselect_b32 s17, s3, s13
	s_mov_b32 s3, 0
	s_wait_kmcnt 0x0
	s_cmp_ge_u32 s17, s16
	s_cbranch_scc1 .LBB21_9
; %bb.2:
	s_bfe_u32 s12, ttmp6, 0x40010
	s_bfe_u32 s20, ttmp6, 0x4000c
	s_add_co_i32 s19, s12, 1
	s_load_b128 s[12:15], s[0:1], 0x28
	s_and_b32 s18, ttmp7, 0xffff
	s_add_co_i32 s20, s20, 1
	s_mul_i32 s19, s18, s19
	s_bfe_u32 s21, ttmp6, 0x40004
	s_and_b32 s22, ttmp6, 15
	s_mul_i32 s20, ttmp9, s20
	s_add_co_i32 s21, s21, s19
	s_add_co_i32 s22, s22, s20
	v_bfe_u32 v1, v0, 10, 10
	s_cmp_eq_u32 s2, 0
	v_mov_b32_e32 v5, 0
	s_cselect_b32 s2, s18, s21
	s_load_b64 s[18:19], s[0:1], 0x0
	v_lshl_add_u32 v4, s2, 3, v1
	v_cmp_neq_f64_e64 s20, s[4:5], 0
	v_cmp_neq_f64_e64 s21, s[6:7], 0
	v_and_b32_e32 v0, 0x3ff, v0
	s_cselect_b32 s2, ttmp9, s22
	s_lshl_b64 s[10:11], s[10:11], 4
	s_wait_kmcnt 0x0
	v_mul_u64_e32 v[2:3], s[12:13], v[4:5]
	v_mov_b32_e32 v1, v5
	v_lshl_add_u32 v0, s2, 7, v0
	s_add_nc_u64 s[0:1], s[0:1], 64
	s_lshl_b64 s[12:13], s[12:13], 4
	s_delay_alu instid0(VALU_DEP_1) | instskip(NEXT) | instid1(VALU_DEP_4)
	v_cmp_gt_u32_e64 s2, s18, v0
	v_lshl_add_u64 v[2:3], v[2:3], 4, s[10:11]
	s_ashr_i32 s11, s19, 31
	s_mov_b32 s10, s19
	s_or_b32 s19, s20, s21
	v_cmp_gt_i64_e32 vcc_lo, s[10:11], v[4:5]
	v_lshl_add_u64 v[2:3], v[0:1], 4, v[2:3]
	s_delay_alu instid0(VALU_DEP_1) | instskip(SKIP_2) | instid1(VALU_DEP_1)
	v_add_nc_u64_e32 v[2:3], s[8:9], v[2:3]
	s_and_b32 s18, s2, vcc_lo
	s_lshl_b64 s[8:9], s[14:15], 4
	v_add_nc_u64_e32 v[6:7], 8, v[2:3]
	s_branch .LBB21_4
.LBB21_3:                               ;   in Loop: Header=BB21_4 Depth=1
	s_or_b32 exec_lo, exec_lo, s20
	s_add_co_i32 s17, s17, 0x10000
	s_delay_alu instid0(SALU_CYCLE_1)
	s_cmp_lt_u32 s17, s16
	s_cbranch_scc0 .LBB21_9
.LBB21_4:                               ; =>This Loop Header: Depth=1
                                        ;     Child Loop BB21_7 Depth 2
	s_and_saveexec_b32 s20, s18
	s_cbranch_execz .LBB21_3
; %bb.5:                                ;   in Loop: Header=BB21_4 Depth=1
	s_load_b32 s2, s[0:1], 0x4
	s_delay_alu instid0(VALU_DEP_1) | instskip(SKIP_2) | instid1(VALU_DEP_2)
	v_mad_nc_u64_u32 v[8:9], s8, s17, v[6:7]
	v_mov_b64_e32 v[10:11], v[4:5]
	s_mov_b32 s21, 0
	v_mad_u32 v9, s9, s17, v9
	s_wait_kmcnt 0x0
	s_lshl_b32 s2, s2, 3
	s_delay_alu instid0(SALU_CYCLE_1)
	s_mul_u64 s[14:15], s[12:13], s[2:3]
	s_branch .LBB21_7
.LBB21_6:                               ;   in Loop: Header=BB21_7 Depth=2
	v_add_nc_u64_e32 v[10:11], s[2:3], v[10:11]
	global_store_b128 v[8:9], v[0:3], off offset:-8
	s_wait_xcnt 0x0
	v_add_nc_u64_e32 v[8:9], s[14:15], v[8:9]
	v_cmp_le_i64_e32 vcc_lo, s[10:11], v[10:11]
	s_or_b32 s21, vcc_lo, s21
	s_delay_alu instid0(SALU_CYCLE_1)
	s_and_not1_b32 exec_lo, exec_lo, s21
	s_cbranch_execz .LBB21_3
.LBB21_7:                               ;   Parent Loop BB21_4 Depth=1
                                        ; =>  This Inner Loop Header: Depth=2
	v_mov_b64_e32 v[2:3], 0
	v_mov_b64_e32 v[0:1], 0
	s_and_not1_b32 vcc_lo, exec_lo, s19
	s_cbranch_vccnz .LBB21_6
; %bb.8:                                ;   in Loop: Header=BB21_7 Depth=2
	global_load_b128 v[12:15], v[8:9], off offset:-8
	s_wait_loadcnt 0x0
	v_mul_f64_e32 v[0:1], s[6:7], v[14:15]
	v_mul_f64_e32 v[2:3], s[4:5], v[14:15]
	s_delay_alu instid0(VALU_DEP_2) | instskip(NEXT) | instid1(VALU_DEP_2)
	v_fma_f64 v[0:1], s[4:5], v[12:13], -v[0:1]
	v_fmac_f64_e32 v[2:3], s[6:7], v[12:13]
	s_branch .LBB21_6
.LBB21_9:
	s_endpgm
	.section	.rodata,"a",@progbits
	.p2align	6, 0x0
	.amdhsa_kernel _ZL25rocblas_symm_scale_kernelILi128ELi8E19rocblas_complex_numIdEPS1_EviiT1_T2_llli
		.amdhsa_group_segment_fixed_size 0
		.amdhsa_private_segment_fixed_size 0
		.amdhsa_kernarg_size 320
		.amdhsa_user_sgpr_count 2
		.amdhsa_user_sgpr_dispatch_ptr 0
		.amdhsa_user_sgpr_queue_ptr 0
		.amdhsa_user_sgpr_kernarg_segment_ptr 1
		.amdhsa_user_sgpr_dispatch_id 0
		.amdhsa_user_sgpr_kernarg_preload_length 0
		.amdhsa_user_sgpr_kernarg_preload_offset 0
		.amdhsa_user_sgpr_private_segment_size 0
		.amdhsa_wavefront_size32 1
		.amdhsa_uses_dynamic_stack 0
		.amdhsa_enable_private_segment 0
		.amdhsa_system_sgpr_workgroup_id_x 1
		.amdhsa_system_sgpr_workgroup_id_y 1
		.amdhsa_system_sgpr_workgroup_id_z 1
		.amdhsa_system_sgpr_workgroup_info 0
		.amdhsa_system_vgpr_workitem_id 1
		.amdhsa_next_free_vgpr 16
		.amdhsa_next_free_sgpr 23
		.amdhsa_named_barrier_count 0
		.amdhsa_reserve_vcc 1
		.amdhsa_float_round_mode_32 0
		.amdhsa_float_round_mode_16_64 0
		.amdhsa_float_denorm_mode_32 3
		.amdhsa_float_denorm_mode_16_64 3
		.amdhsa_fp16_overflow 0
		.amdhsa_memory_ordered 1
		.amdhsa_forward_progress 1
		.amdhsa_inst_pref_size 5
		.amdhsa_round_robin_scheduling 0
		.amdhsa_exception_fp_ieee_invalid_op 0
		.amdhsa_exception_fp_denorm_src 0
		.amdhsa_exception_fp_ieee_div_zero 0
		.amdhsa_exception_fp_ieee_overflow 0
		.amdhsa_exception_fp_ieee_underflow 0
		.amdhsa_exception_fp_ieee_inexact 0
		.amdhsa_exception_int_div_zero 0
	.end_amdhsa_kernel
	.section	.text._ZL25rocblas_symm_scale_kernelILi128ELi8E19rocblas_complex_numIdEPS1_EviiT1_T2_llli,"axG",@progbits,_ZL25rocblas_symm_scale_kernelILi128ELi8E19rocblas_complex_numIdEPS1_EviiT1_T2_llli,comdat
.Lfunc_end21:
	.size	_ZL25rocblas_symm_scale_kernelILi128ELi8E19rocblas_complex_numIdEPS1_EviiT1_T2_llli, .Lfunc_end21-_ZL25rocblas_symm_scale_kernelILi128ELi8E19rocblas_complex_numIdEPS1_EviiT1_T2_llli
                                        ; -- End function
	.set _ZL25rocblas_symm_scale_kernelILi128ELi8E19rocblas_complex_numIdEPS1_EviiT1_T2_llli.num_vgpr, 16
	.set _ZL25rocblas_symm_scale_kernelILi128ELi8E19rocblas_complex_numIdEPS1_EviiT1_T2_llli.num_agpr, 0
	.set _ZL25rocblas_symm_scale_kernelILi128ELi8E19rocblas_complex_numIdEPS1_EviiT1_T2_llli.numbered_sgpr, 23
	.set _ZL25rocblas_symm_scale_kernelILi128ELi8E19rocblas_complex_numIdEPS1_EviiT1_T2_llli.num_named_barrier, 0
	.set _ZL25rocblas_symm_scale_kernelILi128ELi8E19rocblas_complex_numIdEPS1_EviiT1_T2_llli.private_seg_size, 0
	.set _ZL25rocblas_symm_scale_kernelILi128ELi8E19rocblas_complex_numIdEPS1_EviiT1_T2_llli.uses_vcc, 1
	.set _ZL25rocblas_symm_scale_kernelILi128ELi8E19rocblas_complex_numIdEPS1_EviiT1_T2_llli.uses_flat_scratch, 0
	.set _ZL25rocblas_symm_scale_kernelILi128ELi8E19rocblas_complex_numIdEPS1_EviiT1_T2_llli.has_dyn_sized_stack, 0
	.set _ZL25rocblas_symm_scale_kernelILi128ELi8E19rocblas_complex_numIdEPS1_EviiT1_T2_llli.has_recursion, 0
	.set _ZL25rocblas_symm_scale_kernelILi128ELi8E19rocblas_complex_numIdEPS1_EviiT1_T2_llli.has_indirect_call, 0
	.section	.AMDGPU.csdata,"",@progbits
; Kernel info:
; codeLenInByte = 540
; TotalNumSgprs: 25
; NumVgprs: 16
; ScratchSize: 0
; MemoryBound: 0
; FloatMode: 240
; IeeeMode: 1
; LDSByteSize: 0 bytes/workgroup (compile time only)
; SGPRBlocks: 0
; VGPRBlocks: 0
; NumSGPRsForWavesPerEU: 25
; NumVGPRsForWavesPerEU: 16
; NamedBarCnt: 0
; Occupancy: 16
; WaveLimiterHint : 0
; COMPUTE_PGM_RSRC2:SCRATCH_EN: 0
; COMPUTE_PGM_RSRC2:USER_SGPR: 2
; COMPUTE_PGM_RSRC2:TRAP_HANDLER: 0
; COMPUTE_PGM_RSRC2:TGID_X_EN: 1
; COMPUTE_PGM_RSRC2:TGID_Y_EN: 1
; COMPUTE_PGM_RSRC2:TGID_Z_EN: 1
; COMPUTE_PGM_RSRC2:TIDIG_COMP_CNT: 1
	.section	.text._ZL24rocblas_symm_hemm_kernelILb0ELb0ELi32E19rocblas_complex_numIdEPKS1_PS1_EvbiiT2_T3_lllS6_lllT4_llli,"axG",@progbits,_ZL24rocblas_symm_hemm_kernelILb0ELb0ELi32E19rocblas_complex_numIdEPKS1_PS1_EvbiiT2_T3_lllS6_lllT4_llli,comdat
	.globl	_ZL24rocblas_symm_hemm_kernelILb0ELb0ELi32E19rocblas_complex_numIdEPKS1_PS1_EvbiiT2_T3_lllS6_lllT4_llli ; -- Begin function _ZL24rocblas_symm_hemm_kernelILb0ELb0ELi32E19rocblas_complex_numIdEPKS1_PS1_EvbiiT2_T3_lllS6_lllT4_llli
	.p2align	8
	.type	_ZL24rocblas_symm_hemm_kernelILb0ELb0ELi32E19rocblas_complex_numIdEPKS1_PS1_EvbiiT2_T3_lllS6_lllT4_llli,@function
_ZL24rocblas_symm_hemm_kernelILb0ELb0ELi32E19rocblas_complex_numIdEPKS1_PS1_EvbiiT2_T3_lllS6_lllT4_llli: ; @_ZL24rocblas_symm_hemm_kernelILb0ELb0ELi32E19rocblas_complex_numIdEPKS1_PS1_EvbiiT2_T3_lllS6_lllT4_llli
; %bb.0:
	s_load_b512 s[4:19], s[0:1], 0x10
	s_wait_kmcnt 0x0
	v_cmp_eq_f64_e64 s2, s[4:5], 0
	v_cmp_eq_f64_e64 s3, s[6:7], 0
	s_and_b32 s2, s2, s3
	s_delay_alu instid0(SALU_CYCLE_1)
	s_and_b32 vcc_lo, exec_lo, s2
	s_cbranch_vccnz .LBB22_18
; %bb.1:
	s_load_b32 s33, s[0:1], 0x80
	s_bfe_u32 s2, ttmp6, 0x40014
	s_lshr_b32 s20, ttmp7, 16
	s_add_co_i32 s2, s2, 1
	s_bfe_u32 s21, ttmp6, 0x40008
	s_mul_i32 s2, s20, s2
	s_getreg_b32 s3, hwreg(HW_REG_IB_STS2, 6, 4)
	s_add_co_i32 s21, s21, s2
	s_cmp_eq_u32 s3, 0
	s_mov_b32 s35, 0
	s_cselect_b32 s34, s20, s21
	s_wait_kmcnt 0x0
	s_cmp_ge_u32 s34, s33
	s_cbranch_scc1 .LBB22_18
; %bb.2:
	s_clause 0x1
	s_load_b96 s[36:38], s[0:1], 0x0
	s_load_b256 s[20:27], s[0:1], 0x50
	s_lshl_b64 s[10:11], s[10:11], 4
	s_lshl_b64 s[18:19], s[18:19], 4
	v_bfe_u32 v20, v0, 10, 10
	v_and_b32_e32 v21, 0x3ff, v0
	s_add_nc_u64 s[8:9], s[8:9], s[10:11]
	s_add_nc_u64 s[10:11], s[16:17], s[18:19]
	;; [unrolled: 1-line block ×3, first 2 shown]
	s_delay_alu instid0(VALU_DEP_1) | instskip(NEXT) | instid1(VALU_DEP_1)
	v_dual_lshlrev_b32 v0, 4, v20 :: v_dual_lshlrev_b32 v22, 9, v21
	v_or_b32_e32 v23, 0x4000, v0
	s_delay_alu instid0(VALU_DEP_1)
	v_dual_add_nc_u32 v24, v22, v0 :: v_dual_add_nc_u32 v25, v23, v22
	s_wait_kmcnt 0x0
	s_bitcmp1_b32 s36, 0
	s_cselect_b32 s2, -1, 0
	s_lshl_b64 s[40:41], s[26:27], 4
	s_add_co_i32 s26, s38, -1
	s_bfe_u32 s28, ttmp6, 0x4000c
	s_bfe_u32 s29, ttmp6, 0x40010
	s_ashr_i32 s31, s26, 31
	s_and_b32 s36, ttmp7, 0xffff
	s_add_co_i32 s28, s28, 1
	s_add_co_i32 s29, s29, 1
	s_lshr_b32 s31, s31, 27
	s_and_b32 s27, ttmp6, 15
	s_bfe_u32 s30, ttmp6, 0x40004
	s_mul_i32 s28, ttmp9, s28
	s_mul_i32 s29, s36, s29
	s_add_co_i32 s26, s26, s31
	s_add_co_i32 s27, s27, s28
	;; [unrolled: 1-line block ×3, first 2 shown]
	s_ashr_i32 s26, s26, 5
	s_load_b128 s[28:31], s[0:1], 0x70
	s_cmp_eq_u32 s3, 0
	s_add_nc_u64 s[24:25], s[24:25], s[40:41]
	s_cselect_b32 s3, ttmp9, s27
	s_cselect_b32 s27, s36, s39
	v_lshl_add_u32 v8, s3, 5, v21
	s_cmp_le_i32 s27, s26
	s_cselect_b32 s36, -1, 0
	s_cmp_gt_i32 s37, 0
	s_delay_alu instid0(VALU_DEP_1)
	v_ashrrev_i32_e32 v9, 31, v8
	v_cmp_gt_i32_e64 s3, s37, v8
	s_cselect_b32 s39, -1, 0
	v_lshl_add_u64 v[10:11], v[8:9], 4, s[24:25]
	s_branch .LBB22_4
.LBB22_3:                               ;   in Loop: Header=BB22_4 Depth=1
	s_add_co_i32 s34, s34, 0x10000
	s_delay_alu instid0(SALU_CYCLE_1)
	s_cmp_lt_u32 s34, s33
	s_cbranch_scc0 .LBB22_18
.LBB22_4:                               ; =>This Loop Header: Depth=1
                                        ;     Child Loop BB22_7 Depth 2
                                        ;       Child Loop BB22_10 Depth 3
                                        ;         Child Loop BB22_16 Depth 4
	s_and_not1_b32 vcc_lo, exec_lo, s36
	s_cbranch_vccnz .LBB22_3
; %bb.5:                                ;   in Loop: Header=BB22_4 Depth=1
	s_wait_xcnt 0x0
	s_load_b32 s1, s[16:17], 0x4
	s_wait_kmcnt 0x0
	s_mul_u64 s[40:41], s[30:31], s[34:35]
	s_mul_u64 s[18:19], s[14:15], s[34:35]
	;; [unrolled: 1-line block ×3, first 2 shown]
	v_lshl_add_u64 v[12:13], s[40:41], 4, v[10:11]
	s_lshl_b64 s[18:19], s[18:19], 4
	s_lshl_b64 s[24:25], s[24:25], 4
	s_add_nc_u64 s[18:19], s[8:9], s[18:19]
	s_add_nc_u64 s[24:25], s[10:11], s[24:25]
	s_mov_b32 s40, s27
	s_branch .LBB22_7
.LBB22_6:                               ;   in Loop: Header=BB22_7 Depth=2
	s_add_co_i32 s40, s40, s1
	s_delay_alu instid0(SALU_CYCLE_1)
	s_cmp_gt_i32 s40, s26
	s_cbranch_scc1 .LBB22_3
.LBB22_7:                               ;   Parent Loop BB22_4 Depth=1
                                        ; =>  This Loop Header: Depth=2
                                        ;       Child Loop BB22_10 Depth 3
                                        ;         Child Loop BB22_16 Depth 4
	s_and_not1_b32 vcc_lo, exec_lo, s39
	s_cbranch_vccnz .LBB22_6
; %bb.8:                                ;   in Loop: Header=BB22_7 Depth=2
	v_lshl_add_u32 v0, s40, 5, v20
	s_mov_b32 s42, 0
	s_delay_alu instid0(VALU_DEP_1) | instskip(SKIP_1) | instid1(VALU_DEP_2)
	v_ashrrev_i32_e32 v1, 31, v0
	v_cmp_gt_i32_e32 vcc_lo, s38, v0
	v_mul_u64_e32 v[2:3], s[20:21], v[0:1]
	v_mul_u64_e32 v[4:5], s[28:29], v[0:1]
	s_and_b32 s41, s3, vcc_lo
	s_delay_alu instid0(VALU_DEP_2) | instskip(NEXT) | instid1(VALU_DEP_2)
	v_lshl_add_u64 v[14:15], v[2:3], 4, s[24:25]
	v_lshl_add_u64 v[16:17], v[4:5], 4, v[12:13]
	s_branch .LBB22_10
.LBB22_9:                               ;   in Loop: Header=BB22_10 Depth=3
	s_wait_xcnt 0x0
	s_or_b32 exec_lo, exec_lo, s0
	s_add_co_i32 s42, s42, 32
	s_wait_storecnt 0x0
	s_cmp_ge_i32 s42, s37
	s_barrier_signal -1
	s_barrier_wait -1
	s_cbranch_scc1 .LBB22_6
.LBB22_10:                              ;   Parent Loop BB22_4 Depth=1
                                        ;     Parent Loop BB22_7 Depth=2
                                        ; =>    This Loop Header: Depth=3
                                        ;         Child Loop BB22_16 Depth 4
	v_add_nc_u32_e32 v0, s42, v20
	v_mov_b64_e32 v[4:5], 0
	v_mov_b64_e32 v[6:7], 0
	s_mov_b32 s43, exec_lo
	s_delay_alu instid0(VALU_DEP_3) | instskip(SKIP_1) | instid1(VALU_DEP_1)
	v_cndmask_b32_e64 v1, v0, v8, s2
	v_cndmask_b32_e64 v2, v8, v0, s2
	v_cmp_gt_i32_e64 s0, v1, v2
	s_delay_alu instid0(VALU_DEP_1) | instskip(SKIP_2) | instid1(VALU_DEP_2)
	v_cndmask_b32_e64 v2, v8, v0, s0
	v_cndmask_b32_e64 v18, v0, v8, s0
	v_mov_b64_e32 v[0:1], 0
	v_max_i32_e32 v3, v2, v18
	s_delay_alu instid0(VALU_DEP_1)
	v_cmpx_gt_i32_e64 s37, v3
	s_cbranch_execz .LBB22_12
; %bb.11:                               ;   in Loop: Header=BB22_10 Depth=3
	v_ashrrev_i32_e32 v19, 31, v18
	v_ashrrev_i32_e32 v3, 31, v2
	s_delay_alu instid0(VALU_DEP_2) | instskip(NEXT) | instid1(VALU_DEP_1)
	v_mul_u64_e32 v[4:5], s[12:13], v[18:19]
	v_lshl_add_u64 v[4:5], v[4:5], 4, s[18:19]
	s_delay_alu instid0(VALU_DEP_1)
	v_lshl_add_u64 v[2:3], v[2:3], 4, v[4:5]
	global_load_b128 v[4:7], v[2:3], off
.LBB22_12:                              ;   in Loop: Header=BB22_10 Depth=3
	s_wait_xcnt 0x0
	s_or_b32 exec_lo, exec_lo, s43
	v_add_nc_u32_e32 v18, s42, v21
	v_mov_b64_e32 v[2:3], 0
	s_wait_loadcnt 0x0
	ds_store_b128 v24, v[4:7]
	v_cmp_gt_i32_e64 s0, s37, v18
	s_and_b32 s43, s0, vcc_lo
	s_delay_alu instid0(SALU_CYCLE_1)
	s_and_saveexec_b32 s0, s43
	s_cbranch_execz .LBB22_14
; %bb.13:                               ;   in Loop: Header=BB22_10 Depth=3
	v_ashrrev_i32_e32 v19, 31, v18
	s_delay_alu instid0(VALU_DEP_1)
	v_lshl_add_u64 v[0:1], v[18:19], 4, v[14:15]
	global_load_b128 v[0:3], v[0:1], off
.LBB22_14:                              ;   in Loop: Header=BB22_10 Depth=3
	s_wait_xcnt 0x0
	s_or_b32 exec_lo, exec_lo, s0
	s_wait_loadcnt 0x0
	ds_store_b128 v25, v[0:3]
	s_wait_dscnt 0x0
	s_barrier_signal -1
	s_barrier_wait -1
	s_and_saveexec_b32 s0, s41
	s_cbranch_execz .LBB22_9
; %bb.15:                               ;   in Loop: Header=BB22_10 Depth=3
	v_mov_b64_e32 v[0:1], 0
	v_mov_b64_e32 v[2:3], 0
	v_mov_b32_e32 v4, v23
	s_mov_b32 s43, 0
.LBB22_16:                              ;   Parent Loop BB22_4 Depth=1
                                        ;     Parent Loop BB22_7 Depth=2
                                        ;       Parent Loop BB22_10 Depth=3
                                        ; =>      This Inner Loop Header: Depth=4
	s_delay_alu instid0(SALU_CYCLE_1)
	v_add_nc_u32_e32 v5, s43, v22
	s_addk_co_i32 s43, 0x80
	ds_load_b128 v[26:29], v4
	ds_load_b128 v[30:33], v5
	ds_load_b128 v[34:37], v4 offset:512
	ds_load_b128 v[38:41], v5 offset:16
	s_cmp_eq_u32 s43, 0x200
	s_wait_dscnt 0x2
	v_mul_f64_e32 v[6:7], v[28:29], v[32:33]
	v_mul_f64_e32 v[18:19], v[26:27], v[32:33]
	s_wait_dscnt 0x0
	v_mul_f64_e32 v[48:49], v[36:37], v[40:41]
	v_mul_f64_e32 v[50:51], v[34:35], v[40:41]
	s_delay_alu instid0(VALU_DEP_4) | instskip(NEXT) | instid1(VALU_DEP_4)
	v_fma_f64 v[6:7], v[26:27], v[30:31], -v[6:7]
	v_fmac_f64_e32 v[18:19], v[28:29], v[30:31]
	ds_load_b128 v[26:29], v4 offset:1024
	ds_load_b128 v[30:33], v5 offset:32
	;; [unrolled: 1-line block ×4, first 2 shown]
	v_fmac_f64_e32 v[50:51], v[36:37], v[38:39]
	s_wait_dscnt 0x2
	v_mul_f64_e32 v[52:53], v[28:29], v[32:33]
	v_mul_f64_e32 v[54:55], v[26:27], v[32:33]
	v_fma_f64 v[32:33], v[34:35], v[38:39], -v[48:49]
	v_add_f64_e32 v[0:1], v[0:1], v[6:7]
	v_add_f64_e32 v[2:3], v[2:3], v[18:19]
	s_wait_dscnt 0x0
	v_mul_f64_e32 v[6:7], v[42:43], v[46:47]
	v_mul_f64_e32 v[18:19], v[40:41], v[46:47]
	v_fma_f64 v[38:39], v[26:27], v[30:31], -v[52:53]
	v_fmac_f64_e32 v[54:55], v[28:29], v[30:31]
	v_add_f64_e32 v[46:47], v[0:1], v[32:33]
	v_add_f64_e32 v[48:49], v[2:3], v[50:51]
	ds_load_b128 v[0:3], v4 offset:2048
	ds_load_b128 v[26:29], v5 offset:64
	;; [unrolled: 1-line block ×4, first 2 shown]
	v_fma_f64 v[6:7], v[40:41], v[44:45], -v[6:7]
	v_fmac_f64_e32 v[18:19], v[42:43], v[44:45]
	s_wait_dscnt 0x2
	v_mul_f64_e32 v[50:51], v[2:3], v[28:29]
	v_mul_f64_e32 v[52:53], v[0:1], v[28:29]
	s_wait_dscnt 0x0
	v_mul_f64_e32 v[44:45], v[32:33], v[36:37]
	v_add_f64_e32 v[28:29], v[46:47], v[38:39]
	v_add_f64_e32 v[38:39], v[48:49], v[54:55]
	v_mul_f64_e32 v[46:47], v[30:31], v[36:37]
	v_fma_f64 v[48:49], v[0:1], v[26:27], -v[50:51]
	v_fmac_f64_e32 v[52:53], v[2:3], v[26:27]
	v_fma_f64 v[30:31], v[30:31], v[34:35], -v[44:45]
	v_add_f64_e32 v[6:7], v[28:29], v[6:7]
	v_add_f64_e32 v[18:19], v[38:39], v[18:19]
	ds_load_b128 v[0:3], v4 offset:3072
	ds_load_b128 v[26:29], v5 offset:96
	;; [unrolled: 1-line block ×4, first 2 shown]
	v_fmac_f64_e32 v[46:47], v[32:33], v[34:35]
	v_add_nc_u32_e32 v4, 0x1000, v4
	s_wait_dscnt 0x2
	v_mul_f64_e32 v[50:51], v[2:3], v[28:29]
	v_mul_f64_e32 v[28:29], v[0:1], v[28:29]
	s_wait_dscnt 0x0
	v_mul_f64_e32 v[32:33], v[38:39], v[42:43]
	v_mul_f64_e32 v[34:35], v[36:37], v[42:43]
	v_add_f64_e32 v[6:7], v[6:7], v[48:49]
	v_add_f64_e32 v[18:19], v[18:19], v[52:53]
	v_fma_f64 v[0:1], v[0:1], v[26:27], -v[50:51]
	v_fmac_f64_e32 v[28:29], v[2:3], v[26:27]
	v_fmac_f64_e32 v[34:35], v[38:39], v[40:41]
	v_add_f64_e32 v[2:3], v[6:7], v[30:31]
	v_add_f64_e32 v[6:7], v[18:19], v[46:47]
	v_fma_f64 v[18:19], v[36:37], v[40:41], -v[32:33]
	s_delay_alu instid0(VALU_DEP_3) | instskip(NEXT) | instid1(VALU_DEP_3)
	v_add_f64_e32 v[0:1], v[2:3], v[0:1]
	v_add_f64_e32 v[2:3], v[6:7], v[28:29]
	s_delay_alu instid0(VALU_DEP_2) | instskip(NEXT) | instid1(VALU_DEP_2)
	v_add_f64_e32 v[0:1], v[0:1], v[18:19]
	v_add_f64_e32 v[2:3], v[2:3], v[34:35]
	s_cbranch_scc0 .LBB22_16
; %bb.17:                               ;   in Loop: Header=BB22_10 Depth=3
	global_load_b128 v[4:7], v[16:17], off
	v_mul_f64_e32 v[18:19], s[6:7], v[2:3]
	v_mul_f64_e32 v[26:27], s[6:7], v[0:1]
	s_delay_alu instid0(VALU_DEP_2) | instskip(NEXT) | instid1(VALU_DEP_2)
	v_fma_f64 v[0:1], s[4:5], v[0:1], -v[18:19]
	v_fmac_f64_e32 v[26:27], s[4:5], v[2:3]
	s_wait_loadcnt 0x0
	s_delay_alu instid0(VALU_DEP_2) | instskip(NEXT) | instid1(VALU_DEP_2)
	v_add_f64_e32 v[0:1], v[0:1], v[4:5]
	v_add_f64_e32 v[2:3], v[26:27], v[6:7]
	global_store_b128 v[16:17], v[0:3], off
	s_branch .LBB22_9
.LBB22_18:
	s_endpgm
	.section	.rodata,"a",@progbits
	.p2align	6, 0x0
	.amdhsa_kernel _ZL24rocblas_symm_hemm_kernelILb0ELb0ELi32E19rocblas_complex_numIdEPKS1_PS1_EvbiiT2_T3_lllS6_lllT4_llli
		.amdhsa_group_segment_fixed_size 32768
		.amdhsa_private_segment_fixed_size 0
		.amdhsa_kernarg_size 392
		.amdhsa_user_sgpr_count 2
		.amdhsa_user_sgpr_dispatch_ptr 0
		.amdhsa_user_sgpr_queue_ptr 0
		.amdhsa_user_sgpr_kernarg_segment_ptr 1
		.amdhsa_user_sgpr_dispatch_id 0
		.amdhsa_user_sgpr_kernarg_preload_length 0
		.amdhsa_user_sgpr_kernarg_preload_offset 0
		.amdhsa_user_sgpr_private_segment_size 0
		.amdhsa_wavefront_size32 1
		.amdhsa_uses_dynamic_stack 0
		.amdhsa_enable_private_segment 0
		.amdhsa_system_sgpr_workgroup_id_x 1
		.amdhsa_system_sgpr_workgroup_id_y 1
		.amdhsa_system_sgpr_workgroup_id_z 1
		.amdhsa_system_sgpr_workgroup_info 0
		.amdhsa_system_vgpr_workitem_id 1
		.amdhsa_next_free_vgpr 56
		.amdhsa_next_free_sgpr 44
		.amdhsa_named_barrier_count 0
		.amdhsa_reserve_vcc 1
		.amdhsa_float_round_mode_32 0
		.amdhsa_float_round_mode_16_64 0
		.amdhsa_float_denorm_mode_32 3
		.amdhsa_float_denorm_mode_16_64 3
		.amdhsa_fp16_overflow 0
		.amdhsa_memory_ordered 1
		.amdhsa_forward_progress 1
		.amdhsa_inst_pref_size 11
		.amdhsa_round_robin_scheduling 0
		.amdhsa_exception_fp_ieee_invalid_op 0
		.amdhsa_exception_fp_denorm_src 0
		.amdhsa_exception_fp_ieee_div_zero 0
		.amdhsa_exception_fp_ieee_overflow 0
		.amdhsa_exception_fp_ieee_underflow 0
		.amdhsa_exception_fp_ieee_inexact 0
		.amdhsa_exception_int_div_zero 0
	.end_amdhsa_kernel
	.section	.text._ZL24rocblas_symm_hemm_kernelILb0ELb0ELi32E19rocblas_complex_numIdEPKS1_PS1_EvbiiT2_T3_lllS6_lllT4_llli,"axG",@progbits,_ZL24rocblas_symm_hemm_kernelILb0ELb0ELi32E19rocblas_complex_numIdEPKS1_PS1_EvbiiT2_T3_lllS6_lllT4_llli,comdat
.Lfunc_end22:
	.size	_ZL24rocblas_symm_hemm_kernelILb0ELb0ELi32E19rocblas_complex_numIdEPKS1_PS1_EvbiiT2_T3_lllS6_lllT4_llli, .Lfunc_end22-_ZL24rocblas_symm_hemm_kernelILb0ELb0ELi32E19rocblas_complex_numIdEPKS1_PS1_EvbiiT2_T3_lllS6_lllT4_llli
                                        ; -- End function
	.set _ZL24rocblas_symm_hemm_kernelILb0ELb0ELi32E19rocblas_complex_numIdEPKS1_PS1_EvbiiT2_T3_lllS6_lllT4_llli.num_vgpr, 56
	.set _ZL24rocblas_symm_hemm_kernelILb0ELb0ELi32E19rocblas_complex_numIdEPKS1_PS1_EvbiiT2_T3_lllS6_lllT4_llli.num_agpr, 0
	.set _ZL24rocblas_symm_hemm_kernelILb0ELb0ELi32E19rocblas_complex_numIdEPKS1_PS1_EvbiiT2_T3_lllS6_lllT4_llli.numbered_sgpr, 44
	.set _ZL24rocblas_symm_hemm_kernelILb0ELb0ELi32E19rocblas_complex_numIdEPKS1_PS1_EvbiiT2_T3_lllS6_lllT4_llli.num_named_barrier, 0
	.set _ZL24rocblas_symm_hemm_kernelILb0ELb0ELi32E19rocblas_complex_numIdEPKS1_PS1_EvbiiT2_T3_lllS6_lllT4_llli.private_seg_size, 0
	.set _ZL24rocblas_symm_hemm_kernelILb0ELb0ELi32E19rocblas_complex_numIdEPKS1_PS1_EvbiiT2_T3_lllS6_lllT4_llli.uses_vcc, 1
	.set _ZL24rocblas_symm_hemm_kernelILb0ELb0ELi32E19rocblas_complex_numIdEPKS1_PS1_EvbiiT2_T3_lllS6_lllT4_llli.uses_flat_scratch, 0
	.set _ZL24rocblas_symm_hemm_kernelILb0ELb0ELi32E19rocblas_complex_numIdEPKS1_PS1_EvbiiT2_T3_lllS6_lllT4_llli.has_dyn_sized_stack, 0
	.set _ZL24rocblas_symm_hemm_kernelILb0ELb0ELi32E19rocblas_complex_numIdEPKS1_PS1_EvbiiT2_T3_lllS6_lllT4_llli.has_recursion, 0
	.set _ZL24rocblas_symm_hemm_kernelILb0ELb0ELi32E19rocblas_complex_numIdEPKS1_PS1_EvbiiT2_T3_lllS6_lllT4_llli.has_indirect_call, 0
	.section	.AMDGPU.csdata,"",@progbits
; Kernel info:
; codeLenInByte = 1360
; TotalNumSgprs: 46
; NumVgprs: 56
; ScratchSize: 0
; MemoryBound: 1
; FloatMode: 240
; IeeeMode: 1
; LDSByteSize: 32768 bytes/workgroup (compile time only)
; SGPRBlocks: 0
; VGPRBlocks: 3
; NumSGPRsForWavesPerEU: 46
; NumVGPRsForWavesPerEU: 56
; NamedBarCnt: 0
; Occupancy: 16
; WaveLimiterHint : 1
; COMPUTE_PGM_RSRC2:SCRATCH_EN: 0
; COMPUTE_PGM_RSRC2:USER_SGPR: 2
; COMPUTE_PGM_RSRC2:TRAP_HANDLER: 0
; COMPUTE_PGM_RSRC2:TGID_X_EN: 1
; COMPUTE_PGM_RSRC2:TGID_Y_EN: 1
; COMPUTE_PGM_RSRC2:TGID_Z_EN: 1
; COMPUTE_PGM_RSRC2:TIDIG_COMP_CNT: 1
	.section	.text._ZL24rocblas_symm_hemm_kernelILb0ELb1ELi32E19rocblas_complex_numIdEPKS1_PS1_EvbiiT2_T3_lllS6_lllT4_llli,"axG",@progbits,_ZL24rocblas_symm_hemm_kernelILb0ELb1ELi32E19rocblas_complex_numIdEPKS1_PS1_EvbiiT2_T3_lllS6_lllT4_llli,comdat
	.globl	_ZL24rocblas_symm_hemm_kernelILb0ELb1ELi32E19rocblas_complex_numIdEPKS1_PS1_EvbiiT2_T3_lllS6_lllT4_llli ; -- Begin function _ZL24rocblas_symm_hemm_kernelILb0ELb1ELi32E19rocblas_complex_numIdEPKS1_PS1_EvbiiT2_T3_lllS6_lllT4_llli
	.p2align	8
	.type	_ZL24rocblas_symm_hemm_kernelILb0ELb1ELi32E19rocblas_complex_numIdEPKS1_PS1_EvbiiT2_T3_lllS6_lllT4_llli,@function
_ZL24rocblas_symm_hemm_kernelILb0ELb1ELi32E19rocblas_complex_numIdEPKS1_PS1_EvbiiT2_T3_lllS6_lllT4_llli: ; @_ZL24rocblas_symm_hemm_kernelILb0ELb1ELi32E19rocblas_complex_numIdEPKS1_PS1_EvbiiT2_T3_lllS6_lllT4_llli
; %bb.0:
	s_load_b512 s[4:19], s[0:1], 0x10
	s_wait_kmcnt 0x0
	v_cmp_eq_f64_e64 s2, s[4:5], 0
	v_cmp_eq_f64_e64 s3, s[6:7], 0
	s_and_b32 s2, s2, s3
	s_delay_alu instid0(SALU_CYCLE_1)
	s_and_b32 vcc_lo, exec_lo, s2
	s_cbranch_vccnz .LBB23_18
; %bb.1:
	s_load_b32 s33, s[0:1], 0x80
	s_bfe_u32 s2, ttmp6, 0x40014
	s_lshr_b32 s20, ttmp7, 16
	s_add_co_i32 s2, s2, 1
	s_bfe_u32 s21, ttmp6, 0x40008
	s_mul_i32 s2, s20, s2
	s_getreg_b32 s3, hwreg(HW_REG_IB_STS2, 6, 4)
	s_add_co_i32 s21, s21, s2
	s_cmp_eq_u32 s3, 0
	s_mov_b32 s35, 0
	s_cselect_b32 s34, s20, s21
	s_wait_kmcnt 0x0
	s_cmp_ge_u32 s34, s33
	s_cbranch_scc1 .LBB23_18
; %bb.2:
	s_clause 0x1
	s_load_b96 s[36:38], s[0:1], 0x0
	s_load_b256 s[20:27], s[0:1], 0x50
	s_lshl_b64 s[10:11], s[10:11], 4
	v_and_b32_e32 v24, 0x3ff, v0
	v_bfe_u32 v25, v0, 10, 10
	s_add_nc_u64 s[8:9], s[8:9], s[10:11]
	s_delay_alu instid0(VALU_DEP_1) | instskip(NEXT) | instid1(VALU_DEP_1)
	v_dual_lshlrev_b32 v26, 9, v24 :: v_dual_lshlrev_b32 v2, 4, v25
	v_or_b32_e32 v27, 0x4000, v2
	s_delay_alu instid0(VALU_DEP_2) | instskip(NEXT) | instid1(VALU_DEP_2)
	v_add_nc_u32_e32 v28, v26, v2
	v_add_nc_u32_e32 v29, v27, v26
	s_wait_kmcnt 0x0
	s_bitcmp1_b32 s36, 0
	s_cselect_b32 s2, -1, 0
	s_lshl_b64 s[40:41], s[18:19], 4
	s_add_co_i32 s18, s38, -1
	s_bfe_u32 s28, ttmp6, 0x4000c
	s_bfe_u32 s29, ttmp6, 0x40010
	s_ashr_i32 s31, s18, 31
	s_and_b32 s36, ttmp7, 0xffff
	s_add_co_i32 s28, s28, 1
	s_add_co_i32 s29, s29, 1
	s_lshr_b32 s31, s31, 27
	s_and_b32 s19, ttmp6, 15
	s_bfe_u32 s30, ttmp6, 0x40004
	s_mul_i32 s28, ttmp9, s28
	s_mul_i32 s29, s36, s29
	s_add_co_i32 s18, s18, s31
	s_lshl_b64 s[26:27], s[26:27], 4
	s_add_co_i32 s19, s19, s28
	s_add_co_i32 s39, s30, s29
	s_ashr_i32 s18, s18, 5
	s_cmp_eq_u32 s3, 0
	s_load_b128 s[28:31], s[0:1], 0x70
	s_cselect_b32 s3, ttmp9, s19
	s_add_nc_u64 s[40:41], s[16:17], s[40:41]
	v_lshl_add_u32 v0, s3, 5, v24
	s_add_nc_u64 s[24:25], s[24:25], s[26:27]
	s_cselect_b32 s19, s36, s39
	s_wait_xcnt 0x0
	s_add_nc_u64 s[0:1], s[0:1], 0x88
	s_cmp_le_i32 s19, s18
	v_ashrrev_i32_e32 v1, 31, v0
	v_cmp_gt_i32_e64 s3, s37, v0
	s_cselect_b32 s16, -1, 0
	s_cmp_gt_i32 s38, 0
	v_lshlrev_b64_e32 v[2:3], 4, v[0:1]
	s_cselect_b32 s17, -1, 0
	s_delay_alu instid0(VALU_DEP_1)
	v_add_nc_u64_e32 v[8:9], s[40:41], v[2:3]
	v_add_nc_u64_e32 v[10:11], s[24:25], v[2:3]
	s_branch .LBB23_4
.LBB23_3:                               ;   in Loop: Header=BB23_4 Depth=1
	s_add_co_i32 s34, s34, 0x10000
	s_delay_alu instid0(SALU_CYCLE_1)
	s_cmp_lt_u32 s34, s33
	s_cbranch_scc0 .LBB23_18
.LBB23_4:                               ; =>This Loop Header: Depth=1
                                        ;     Child Loop BB23_7 Depth 2
                                        ;       Child Loop BB23_10 Depth 3
                                        ;         Child Loop BB23_16 Depth 4
	s_and_not1_b32 vcc_lo, exec_lo, s16
	s_cbranch_vccnz .LBB23_3
; %bb.5:                                ;   in Loop: Header=BB23_4 Depth=1
	s_load_b32 s24, s[0:1], 0x4
	s_mul_u64 s[26:27], s[22:23], s[34:35]
	s_wait_kmcnt 0x0
	s_mul_u64 s[36:37], s[30:31], s[34:35]
	s_mul_u64 s[10:11], s[14:15], s[34:35]
	v_lshl_add_u64 v[12:13], s[26:27], 4, v[8:9]
	v_lshl_add_u64 v[14:15], s[36:37], 4, v[10:11]
	s_lshl_b64 s[10:11], s[10:11], 4
	s_mov_b32 s25, s19
	s_add_nc_u64 s[10:11], s[8:9], s[10:11]
	s_branch .LBB23_7
.LBB23_6:                               ;   in Loop: Header=BB23_7 Depth=2
	s_add_co_i32 s25, s25, s24
	s_delay_alu instid0(SALU_CYCLE_1)
	s_cmp_gt_i32 s25, s18
	s_cbranch_scc1 .LBB23_3
.LBB23_7:                               ;   Parent Loop BB23_4 Depth=1
                                        ; =>  This Loop Header: Depth=2
                                        ;       Child Loop BB23_10 Depth 3
                                        ;         Child Loop BB23_16 Depth 4
	s_and_not1_b32 vcc_lo, exec_lo, s17
	s_cbranch_vccnz .LBB23_6
; %bb.8:                                ;   in Loop: Header=BB23_7 Depth=2
	v_lshl_add_u32 v16, s25, 5, v25
	s_mov_b32 s27, 0
	s_delay_alu instid0(VALU_DEP_1) | instskip(SKIP_1) | instid1(VALU_DEP_2)
	v_ashrrev_i32_e32 v17, 31, v16
	v_cmp_gt_i32_e32 vcc_lo, s38, v16
	v_mul_u64_e32 v[0:1], s[28:29], v[16:17]
	s_and_b32 s26, s3, vcc_lo
	s_delay_alu instid0(VALU_DEP_1)
	v_lshl_add_u64 v[18:19], v[0:1], 4, v[14:15]
	s_branch .LBB23_10
.LBB23_9:                               ;   in Loop: Header=BB23_10 Depth=3
	s_wait_xcnt 0x0
	s_or_b32 exec_lo, exec_lo, s36
	s_add_co_i32 s27, s27, 32
	s_wait_storecnt 0x0
	s_cmp_ge_i32 s27, s38
	s_barrier_signal -1
	s_barrier_wait -1
	s_cbranch_scc1 .LBB23_6
.LBB23_10:                              ;   Parent Loop BB23_4 Depth=1
                                        ;     Parent Loop BB23_7 Depth=2
                                        ; =>    This Loop Header: Depth=3
                                        ;         Child Loop BB23_16 Depth 4
	v_add_nc_u32_e32 v2, s27, v25
	v_mov_b64_e32 v[0:1], 0
	v_mov_b64_e32 v[4:5], 0
	;; [unrolled: 1-line block ×3, first 2 shown]
	s_delay_alu instid0(VALU_DEP_4) | instskip(SKIP_1) | instid1(SALU_CYCLE_1)
	v_cmp_gt_i32_e32 vcc_lo, s38, v2
	s_and_b32 s37, s3, vcc_lo
	s_and_saveexec_b32 s36, s37
	s_cbranch_execz .LBB23_12
; %bb.11:                               ;   in Loop: Header=BB23_10 Depth=3
	v_ashrrev_i32_e32 v3, 31, v2
	s_delay_alu instid0(VALU_DEP_1) | instskip(NEXT) | instid1(VALU_DEP_1)
	v_mul_u64_e32 v[2:3], s[20:21], v[2:3]
	v_lshl_add_u64 v[2:3], v[2:3], 4, v[12:13]
	global_load_b128 v[4:7], v[2:3], off
.LBB23_12:                              ;   in Loop: Header=BB23_10 Depth=3
	s_wait_xcnt 0x0
	s_or_b32 exec_lo, exec_lo, s36
	v_add_nc_u32_e32 v2, s27, v24
	s_mov_b32 s36, exec_lo
	s_wait_loadcnt 0x0
	ds_store_b128 v28, v[4:7]
	v_dual_cndmask_b32 v3, v16, v2, s2 :: v_dual_cndmask_b32 v17, v2, v16, s2
	s_delay_alu instid0(VALU_DEP_1) | instskip(SKIP_2) | instid1(VALU_DEP_2)
	v_cmp_gt_i32_e32 vcc_lo, v3, v17
	v_dual_cndmask_b32 v20, v2, v16, vcc_lo :: v_dual_cndmask_b32 v22, v16, v2, vcc_lo
	v_mov_b64_e32 v[2:3], 0
	v_max_i32_e32 v17, v20, v22
	s_delay_alu instid0(VALU_DEP_1)
	v_cmpx_gt_i32_e64 s38, v17
	s_cbranch_execz .LBB23_14
; %bb.13:                               ;   in Loop: Header=BB23_10 Depth=3
	v_dual_ashrrev_i32 v23, 31, v22 :: v_dual_ashrrev_i32 v21, 31, v20
	s_delay_alu instid0(VALU_DEP_1) | instskip(NEXT) | instid1(VALU_DEP_1)
	v_mul_u64_e32 v[0:1], s[12:13], v[22:23]
	v_lshl_add_u64 v[0:1], v[0:1], 4, s[10:11]
	s_delay_alu instid0(VALU_DEP_1)
	v_lshl_add_u64 v[0:1], v[20:21], 4, v[0:1]
	global_load_b128 v[0:3], v[0:1], off
.LBB23_14:                              ;   in Loop: Header=BB23_10 Depth=3
	s_wait_xcnt 0x0
	s_or_b32 exec_lo, exec_lo, s36
	s_wait_loadcnt 0x0
	ds_store_b128 v29, v[0:3]
	s_wait_dscnt 0x0
	s_barrier_signal -1
	s_barrier_wait -1
	s_and_saveexec_b32 s36, s26
	s_cbranch_execz .LBB23_9
; %bb.15:                               ;   in Loop: Header=BB23_10 Depth=3
	v_mov_b64_e32 v[0:1], 0
	v_mov_b64_e32 v[2:3], 0
	v_mov_b32_e32 v4, v27
	s_mov_b32 s37, 0
.LBB23_16:                              ;   Parent Loop BB23_4 Depth=1
                                        ;     Parent Loop BB23_7 Depth=2
                                        ;       Parent Loop BB23_10 Depth=3
                                        ; =>      This Inner Loop Header: Depth=4
	s_delay_alu instid0(SALU_CYCLE_1)
	v_add_nc_u32_e32 v5, s37, v26
	s_addk_co_i32 s37, 0x80
	ds_load_b128 v[20:23], v4
	ds_load_b128 v[30:33], v5
	ds_load_b128 v[34:37], v4 offset:512
	ds_load_b128 v[38:41], v5 offset:16
	s_cmp_eq_u32 s37, 0x200
	s_wait_dscnt 0x2
	v_mul_f64_e32 v[6:7], v[22:23], v[32:33]
	v_mul_f64_e32 v[48:49], v[20:21], v[32:33]
	s_wait_dscnt 0x0
	v_mul_f64_e32 v[50:51], v[36:37], v[40:41]
	v_mul_f64_e32 v[52:53], v[34:35], v[40:41]
	s_delay_alu instid0(VALU_DEP_4) | instskip(NEXT) | instid1(VALU_DEP_4)
	v_fma_f64 v[6:7], v[20:21], v[30:31], -v[6:7]
	v_fmac_f64_e32 v[48:49], v[22:23], v[30:31]
	ds_load_b128 v[20:23], v4 offset:1024
	ds_load_b128 v[30:33], v5 offset:32
	;; [unrolled: 1-line block ×4, first 2 shown]
	v_fmac_f64_e32 v[52:53], v[36:37], v[38:39]
	s_wait_dscnt 0x2
	v_mul_f64_e32 v[54:55], v[22:23], v[32:33]
	v_mul_f64_e32 v[56:57], v[20:21], v[32:33]
	v_fma_f64 v[32:33], v[34:35], v[38:39], -v[50:51]
	s_wait_dscnt 0x0
	v_mul_f64_e32 v[38:39], v[40:41], v[46:47]
	v_add_f64_e32 v[0:1], v[0:1], v[6:7]
	v_add_f64_e32 v[2:3], v[2:3], v[48:49]
	v_mul_f64_e32 v[6:7], v[42:43], v[46:47]
	v_fma_f64 v[46:47], v[20:21], v[30:31], -v[54:55]
	v_fmac_f64_e32 v[56:57], v[22:23], v[30:31]
	v_fmac_f64_e32 v[38:39], v[42:43], v[44:45]
	v_add_f64_e32 v[48:49], v[0:1], v[32:33]
	v_add_f64_e32 v[50:51], v[2:3], v[52:53]
	ds_load_b128 v[0:3], v4 offset:2048
	ds_load_b128 v[20:23], v5 offset:64
	;; [unrolled: 1-line block ×4, first 2 shown]
	v_fma_f64 v[6:7], v[40:41], v[44:45], -v[6:7]
	s_wait_dscnt 0x2
	v_mul_f64_e32 v[52:53], v[2:3], v[22:23]
	v_mul_f64_e32 v[54:55], v[0:1], v[22:23]
	s_wait_dscnt 0x0
	v_mul_f64_e32 v[44:45], v[32:33], v[36:37]
	v_add_f64_e32 v[22:23], v[48:49], v[46:47]
	v_add_f64_e32 v[40:41], v[50:51], v[56:57]
	v_mul_f64_e32 v[46:47], v[30:31], v[36:37]
	v_fma_f64 v[48:49], v[0:1], v[20:21], -v[52:53]
	v_fmac_f64_e32 v[54:55], v[2:3], v[20:21]
	v_fma_f64 v[30:31], v[30:31], v[34:35], -v[44:45]
	v_add_f64_e32 v[6:7], v[22:23], v[6:7]
	v_add_f64_e32 v[50:51], v[40:41], v[38:39]
	ds_load_b128 v[0:3], v4 offset:3072
	ds_load_b128 v[20:23], v5 offset:96
	;; [unrolled: 1-line block ×4, first 2 shown]
	v_fmac_f64_e32 v[46:47], v[32:33], v[34:35]
	v_add_nc_u32_e32 v4, 0x1000, v4
	s_wait_dscnt 0x2
	v_mul_f64_e32 v[52:53], v[2:3], v[22:23]
	v_mul_f64_e32 v[22:23], v[0:1], v[22:23]
	s_wait_dscnt 0x0
	v_mul_f64_e32 v[34:35], v[38:39], v[42:43]
	v_mul_f64_e32 v[42:43], v[36:37], v[42:43]
	v_add_f64_e32 v[6:7], v[6:7], v[48:49]
	v_add_f64_e32 v[32:33], v[50:51], v[54:55]
	v_fma_f64 v[0:1], v[0:1], v[20:21], -v[52:53]
	v_fmac_f64_e32 v[22:23], v[2:3], v[20:21]
	v_fma_f64 v[20:21], v[36:37], v[40:41], -v[34:35]
	v_fmac_f64_e32 v[42:43], v[38:39], v[40:41]
	v_add_f64_e32 v[2:3], v[6:7], v[30:31]
	v_add_f64_e32 v[6:7], v[32:33], v[46:47]
	s_delay_alu instid0(VALU_DEP_2) | instskip(NEXT) | instid1(VALU_DEP_2)
	v_add_f64_e32 v[0:1], v[2:3], v[0:1]
	v_add_f64_e32 v[2:3], v[6:7], v[22:23]
	s_delay_alu instid0(VALU_DEP_2) | instskip(NEXT) | instid1(VALU_DEP_2)
	v_add_f64_e32 v[0:1], v[0:1], v[20:21]
	v_add_f64_e32 v[2:3], v[2:3], v[42:43]
	s_cbranch_scc0 .LBB23_16
; %bb.17:                               ;   in Loop: Header=BB23_10 Depth=3
	global_load_b128 v[4:7], v[18:19], off
	v_mul_f64_e32 v[20:21], s[6:7], v[2:3]
	v_mul_f64_e32 v[22:23], s[6:7], v[0:1]
	s_delay_alu instid0(VALU_DEP_2) | instskip(NEXT) | instid1(VALU_DEP_2)
	v_fma_f64 v[0:1], s[4:5], v[0:1], -v[20:21]
	v_fmac_f64_e32 v[22:23], s[4:5], v[2:3]
	s_wait_loadcnt 0x0
	s_delay_alu instid0(VALU_DEP_2) | instskip(NEXT) | instid1(VALU_DEP_2)
	v_add_f64_e32 v[0:1], v[0:1], v[4:5]
	v_add_f64_e32 v[2:3], v[22:23], v[6:7]
	global_store_b128 v[18:19], v[0:3], off
	s_branch .LBB23_9
.LBB23_18:
	s_endpgm
	.section	.rodata,"a",@progbits
	.p2align	6, 0x0
	.amdhsa_kernel _ZL24rocblas_symm_hemm_kernelILb0ELb1ELi32E19rocblas_complex_numIdEPKS1_PS1_EvbiiT2_T3_lllS6_lllT4_llli
		.amdhsa_group_segment_fixed_size 32768
		.amdhsa_private_segment_fixed_size 0
		.amdhsa_kernarg_size 392
		.amdhsa_user_sgpr_count 2
		.amdhsa_user_sgpr_dispatch_ptr 0
		.amdhsa_user_sgpr_queue_ptr 0
		.amdhsa_user_sgpr_kernarg_segment_ptr 1
		.amdhsa_user_sgpr_dispatch_id 0
		.amdhsa_user_sgpr_kernarg_preload_length 0
		.amdhsa_user_sgpr_kernarg_preload_offset 0
		.amdhsa_user_sgpr_private_segment_size 0
		.amdhsa_wavefront_size32 1
		.amdhsa_uses_dynamic_stack 0
		.amdhsa_enable_private_segment 0
		.amdhsa_system_sgpr_workgroup_id_x 1
		.amdhsa_system_sgpr_workgroup_id_y 1
		.amdhsa_system_sgpr_workgroup_id_z 1
		.amdhsa_system_sgpr_workgroup_info 0
		.amdhsa_system_vgpr_workitem_id 1
		.amdhsa_next_free_vgpr 58
		.amdhsa_next_free_sgpr 42
		.amdhsa_named_barrier_count 0
		.amdhsa_reserve_vcc 1
		.amdhsa_float_round_mode_32 0
		.amdhsa_float_round_mode_16_64 0
		.amdhsa_float_denorm_mode_32 3
		.amdhsa_float_denorm_mode_16_64 3
		.amdhsa_fp16_overflow 0
		.amdhsa_memory_ordered 1
		.amdhsa_forward_progress 1
		.amdhsa_inst_pref_size 11
		.amdhsa_round_robin_scheduling 0
		.amdhsa_exception_fp_ieee_invalid_op 0
		.amdhsa_exception_fp_denorm_src 0
		.amdhsa_exception_fp_ieee_div_zero 0
		.amdhsa_exception_fp_ieee_overflow 0
		.amdhsa_exception_fp_ieee_underflow 0
		.amdhsa_exception_fp_ieee_inexact 0
		.amdhsa_exception_int_div_zero 0
	.end_amdhsa_kernel
	.section	.text._ZL24rocblas_symm_hemm_kernelILb0ELb1ELi32E19rocblas_complex_numIdEPKS1_PS1_EvbiiT2_T3_lllS6_lllT4_llli,"axG",@progbits,_ZL24rocblas_symm_hemm_kernelILb0ELb1ELi32E19rocblas_complex_numIdEPKS1_PS1_EvbiiT2_T3_lllS6_lllT4_llli,comdat
.Lfunc_end23:
	.size	_ZL24rocblas_symm_hemm_kernelILb0ELb1ELi32E19rocblas_complex_numIdEPKS1_PS1_EvbiiT2_T3_lllS6_lllT4_llli, .Lfunc_end23-_ZL24rocblas_symm_hemm_kernelILb0ELb1ELi32E19rocblas_complex_numIdEPKS1_PS1_EvbiiT2_T3_lllS6_lllT4_llli
                                        ; -- End function
	.set _ZL24rocblas_symm_hemm_kernelILb0ELb1ELi32E19rocblas_complex_numIdEPKS1_PS1_EvbiiT2_T3_lllS6_lllT4_llli.num_vgpr, 58
	.set _ZL24rocblas_symm_hemm_kernelILb0ELb1ELi32E19rocblas_complex_numIdEPKS1_PS1_EvbiiT2_T3_lllS6_lllT4_llli.num_agpr, 0
	.set _ZL24rocblas_symm_hemm_kernelILb0ELb1ELi32E19rocblas_complex_numIdEPKS1_PS1_EvbiiT2_T3_lllS6_lllT4_llli.numbered_sgpr, 42
	.set _ZL24rocblas_symm_hemm_kernelILb0ELb1ELi32E19rocblas_complex_numIdEPKS1_PS1_EvbiiT2_T3_lllS6_lllT4_llli.num_named_barrier, 0
	.set _ZL24rocblas_symm_hemm_kernelILb0ELb1ELi32E19rocblas_complex_numIdEPKS1_PS1_EvbiiT2_T3_lllS6_lllT4_llli.private_seg_size, 0
	.set _ZL24rocblas_symm_hemm_kernelILb0ELb1ELi32E19rocblas_complex_numIdEPKS1_PS1_EvbiiT2_T3_lllS6_lllT4_llli.uses_vcc, 1
	.set _ZL24rocblas_symm_hemm_kernelILb0ELb1ELi32E19rocblas_complex_numIdEPKS1_PS1_EvbiiT2_T3_lllS6_lllT4_llli.uses_flat_scratch, 0
	.set _ZL24rocblas_symm_hemm_kernelILb0ELb1ELi32E19rocblas_complex_numIdEPKS1_PS1_EvbiiT2_T3_lllS6_lllT4_llli.has_dyn_sized_stack, 0
	.set _ZL24rocblas_symm_hemm_kernelILb0ELb1ELi32E19rocblas_complex_numIdEPKS1_PS1_EvbiiT2_T3_lllS6_lllT4_llli.has_recursion, 0
	.set _ZL24rocblas_symm_hemm_kernelILb0ELb1ELi32E19rocblas_complex_numIdEPKS1_PS1_EvbiiT2_T3_lllS6_lllT4_llli.has_indirect_call, 0
	.section	.AMDGPU.csdata,"",@progbits
; Kernel info:
; codeLenInByte = 1336
; TotalNumSgprs: 44
; NumVgprs: 58
; ScratchSize: 0
; MemoryBound: 1
; FloatMode: 240
; IeeeMode: 1
; LDSByteSize: 32768 bytes/workgroup (compile time only)
; SGPRBlocks: 0
; VGPRBlocks: 3
; NumSGPRsForWavesPerEU: 44
; NumVGPRsForWavesPerEU: 58
; NamedBarCnt: 0
; Occupancy: 16
; WaveLimiterHint : 1
; COMPUTE_PGM_RSRC2:SCRATCH_EN: 0
; COMPUTE_PGM_RSRC2:USER_SGPR: 2
; COMPUTE_PGM_RSRC2:TRAP_HANDLER: 0
; COMPUTE_PGM_RSRC2:TGID_X_EN: 1
; COMPUTE_PGM_RSRC2:TGID_Y_EN: 1
; COMPUTE_PGM_RSRC2:TGID_Z_EN: 1
; COMPUTE_PGM_RSRC2:TIDIG_COMP_CNT: 1
	.section	.text._ZL24rocblas_symm_hemm_kernelILb1ELb0ELi32EPK19rocblas_complex_numIfES3_PS1_EvbiiT2_T3_lllS6_lllT4_llli,"axG",@progbits,_ZL24rocblas_symm_hemm_kernelILb1ELb0ELi32EPK19rocblas_complex_numIfES3_PS1_EvbiiT2_T3_lllS6_lllT4_llli,comdat
	.globl	_ZL24rocblas_symm_hemm_kernelILb1ELb0ELi32EPK19rocblas_complex_numIfES3_PS1_EvbiiT2_T3_lllS6_lllT4_llli ; -- Begin function _ZL24rocblas_symm_hemm_kernelILb1ELb0ELi32EPK19rocblas_complex_numIfES3_PS1_EvbiiT2_T3_lllS6_lllT4_llli
	.p2align	8
	.type	_ZL24rocblas_symm_hemm_kernelILb1ELb0ELi32EPK19rocblas_complex_numIfES3_PS1_EvbiiT2_T3_lllS6_lllT4_llli,@function
_ZL24rocblas_symm_hemm_kernelILb1ELb0ELi32EPK19rocblas_complex_numIfES3_PS1_EvbiiT2_T3_lllS6_lllT4_llli: ; @_ZL24rocblas_symm_hemm_kernelILb1ELb0ELi32EPK19rocblas_complex_numIfES3_PS1_EvbiiT2_T3_lllS6_lllT4_llli
; %bb.0:
	s_load_b512 s[4:19], s[0:1], 0x10
	s_wait_kmcnt 0x0
	s_load_b64 s[34:35], s[4:5], 0x0
	s_wait_kmcnt 0x0
	s_cmp_eq_f32 s34, 0
	s_cselect_b32 s2, -1, 0
	s_cmp_eq_f32 s35, 0
	s_cselect_b32 s3, -1, 0
	s_delay_alu instid0(SALU_CYCLE_1) | instskip(NEXT) | instid1(SALU_CYCLE_1)
	s_and_b32 s2, s2, s3
	s_and_b32 vcc_lo, exec_lo, s2
	s_cbranch_vccnz .LBB24_24
; %bb.1:
	s_load_b32 s31, s[0:1], 0x78
	s_bfe_u32 s2, ttmp6, 0x40014
	s_lshr_b32 s4, ttmp7, 16
	s_add_co_i32 s2, s2, 1
	s_bfe_u32 s5, ttmp6, 0x40008
	s_mul_i32 s2, s4, s2
	s_getreg_b32 s3, hwreg(HW_REG_IB_STS2, 6, 4)
	s_add_co_i32 s5, s5, s2
	s_cmp_eq_u32 s3, 0
	s_cselect_b32 s4, s4, s5
	s_wait_kmcnt 0x0
	s_cmp_ge_u32 s4, s31
	s_cbranch_scc1 .LBB24_24
; %bb.2:
	s_clause 0x1
	s_load_b96 s[28:30], s[0:1], 0x0
	s_load_b256 s[20:27], s[0:1], 0x50
	s_lshl_b64 s[16:17], s[16:17], 3
	s_lshl_b64 s[36:37], s[8:9], 3
	v_and_b32_e32 v24, 0x3ff, v0
	v_bfe_u32 v25, v0, 10, 10
	s_add_nc_u64 s[14:15], s[14:15], s[16:17]
	s_add_nc_u64 s[6:7], s[6:7], s[36:37]
	s_delay_alu instid0(VALU_DEP_1) | instskip(NEXT) | instid1(VALU_DEP_1)
	v_dual_lshlrev_b32 v26, 8, v24 :: v_dual_lshlrev_b32 v0, 3, v25
	v_or_b32_e32 v27, 0x2000, v0
	s_delay_alu instid0(VALU_DEP_1)
	v_dual_add_nc_u32 v28, v26, v0 :: v_dual_add_nc_u32 v29, v27, v26
	s_wait_kmcnt 0x0
	s_bitcmp1_b32 s28, 0
	v_add_nc_u32_e32 v30, 0x800, v27
	s_cselect_b32 s2, -1, 0
	s_add_co_i32 s5, s30, -1
	s_bfe_u32 s9, ttmp6, 0x4000c
	s_bfe_u32 s28, ttmp6, 0x40010
	s_ashr_i32 s39, s5, 31
	s_and_b32 s33, ttmp7, 0xffff
	s_add_co_i32 s9, s9, 1
	s_add_co_i32 s28, s28, 1
	s_lshr_b32 s39, s39, 27
	s_and_b32 s8, ttmp6, 15
	s_bfe_u32 s38, ttmp6, 0x40004
	s_mul_i32 s9, ttmp9, s9
	s_mul_i32 s28, s33, s28
	s_add_co_i32 s5, s5, s39
	s_lshl_b64 s[24:25], s[24:25], 3
	s_add_co_i32 s8, s8, s9
	s_add_co_i32 s38, s38, s28
	s_ashr_i32 s28, s5, 5
	s_cmp_eq_u32 s3, 0
	s_add_nc_u64 s[16:17], s[22:23], s[24:25]
	s_cselect_b32 s3, ttmp9, s8
	s_load_b64 s[8:9], s[0:1], 0x70
	v_lshl_add_u32 v2, s3, 5, v24
	s_cselect_b32 s33, s33, s38
	v_add_nc_u32_e32 v31, 0x1000, v27
	s_cmp_le_i32 s33, s28
	v_add_nc_u32_e32 v32, 0x1800, v27
	v_ashrrev_i32_e32 v3, 31, v2
	v_cmp_gt_i32_e64 s3, s29, v2
	s_cselect_b32 s36, -1, 0
	s_cmp_gt_i32 s29, 0
	s_mov_b32 s5, 0
	v_mul_u64_e32 v[4:5], s[10:11], v[2:3]
	v_lshl_add_u64 v[0:1], v[2:3], 3, s[16:17]
	s_cselect_b32 s37, -1, 0
	s_add_nc_u64 s[16:17], s[0:1], 0x80
	s_mov_b32 s22, s35
	s_mov_b32 s23, s34
	s_delay_alu instid0(VALU_DEP_2)
	v_lshlrev_b64_e32 v[4:5], 3, v[4:5]
	s_branch .LBB24_4
.LBB24_3:                               ;   in Loop: Header=BB24_4 Depth=1
	s_add_co_i32 s4, s4, 0x10000
	s_delay_alu instid0(SALU_CYCLE_1)
	s_cmp_lt_u32 s4, s31
	s_cbranch_scc0 .LBB24_24
.LBB24_4:                               ; =>This Loop Header: Depth=1
                                        ;     Child Loop BB24_7 Depth 2
                                        ;       Child Loop BB24_10 Depth 3
	s_and_not1_b32 vcc_lo, exec_lo, s36
	s_cbranch_vccnz .LBB24_3
; %bb.5:                                ;   in Loop: Header=BB24_4 Depth=1
	s_load_b32 s38, s[16:17], 0x4
	s_wait_xcnt 0x0
	s_mul_u64 s[0:1], s[12:13], s[4:5]
	s_wait_kmcnt 0x0
	s_mul_u64 s[40:41], s[8:9], s[4:5]
	s_lshl_b64 s[0:1], s[0:1], 3
	s_mul_u64 s[24:25], s[20:21], s[4:5]
	s_add_nc_u64 s[0:1], s[6:7], s[0:1]
	v_lshl_add_u64 v[12:13], s[40:41], 3, v[0:1]
	v_lshl_add_u64 v[6:7], v[2:3], 3, s[0:1]
	v_add_nc_u64_e32 v[8:9], s[0:1], v[4:5]
	s_lshl_b64 s[0:1], s[24:25], 3
	s_mov_b32 s39, s33
	s_add_nc_u64 s[24:25], s[14:15], s[0:1]
	v_add_nc_u64_e32 v[10:11], v[6:7], v[4:5]
	s_branch .LBB24_7
.LBB24_6:                               ;   in Loop: Header=BB24_7 Depth=2
	s_add_co_i32 s39, s39, s38
	s_delay_alu instid0(SALU_CYCLE_1)
	s_cmp_gt_i32 s39, s28
	s_cbranch_scc1 .LBB24_3
.LBB24_7:                               ;   Parent Loop BB24_4 Depth=1
                                        ; =>  This Loop Header: Depth=2
                                        ;       Child Loop BB24_10 Depth 3
	s_and_not1_b32 vcc_lo, exec_lo, s37
	s_cbranch_vccnz .LBB24_6
; %bb.8:                                ;   in Loop: Header=BB24_7 Depth=2
	v_lshl_add_u32 v14, s39, 5, v25
	s_mov_b32 s41, 0
	s_delay_alu instid0(VALU_DEP_1) | instskip(SKIP_1) | instid1(VALU_DEP_2)
	v_ashrrev_i32_e32 v15, 31, v14
	v_cmp_gt_i32_e32 vcc_lo, s30, v14
	v_mul_u64_e32 v[16:17], s[18:19], v[14:15]
	v_mul_u64_e32 v[18:19], s[26:27], v[14:15]
	s_and_b32 s40, s3, vcc_lo
	s_delay_alu instid0(VALU_DEP_2) | instskip(NEXT) | instid1(VALU_DEP_2)
	v_lshl_add_u64 v[14:15], v[16:17], 3, s[24:25]
	v_lshl_add_u64 v[16:17], v[18:19], 3, v[12:13]
	s_branch .LBB24_10
.LBB24_9:                               ;   in Loop: Header=BB24_10 Depth=3
	s_wait_xcnt 0x0
	s_or_b32 exec_lo, exec_lo, s0
	s_add_co_i32 s41, s41, 32
	s_wait_storecnt 0x0
	s_cmp_ge_i32 s41, s29
	s_barrier_signal -1
	s_barrier_wait -1
	s_cbranch_scc1 .LBB24_6
.LBB24_10:                              ;   Parent Loop BB24_4 Depth=1
                                        ;     Parent Loop BB24_7 Depth=2
                                        ; =>    This Inner Loop Header: Depth=3
	v_add_nc_u32_e32 v22, s41, v25
	s_mov_b32 s42, exec_lo
	s_delay_alu instid0(VALU_DEP_1) | instskip(SKIP_1) | instid1(VALU_DEP_1)
	v_cndmask_b32_e64 v19, v22, v2, s2
	v_cndmask_b32_e64 v21, v2, v22, s2
	v_cmp_gt_i32_e64 s0, v19, v21
	s_delay_alu instid0(VALU_DEP_1) | instskip(SKIP_2) | instid1(VALU_DEP_2)
	v_cndmask_b32_e64 v18, v2, v22, s0
	v_cndmask_b32_e64 v20, v22, v2, s0
	v_cmp_le_i32_e64 s0, v19, v21
	v_dual_mov_b32 v21, 0 :: v_dual_max_i32 v23, v18, v20
	v_dual_mov_b32 v18, 0 :: v_dual_mov_b32 v20, 0
	s_delay_alu instid0(VALU_DEP_2)
	v_cmpx_gt_i32_e64 s29, v23
	s_cbranch_execz .LBB24_20
; %bb.11:                               ;   in Loop: Header=BB24_10 Depth=3
                                        ; implicit-def: $vgpr21
	s_and_saveexec_b32 s1, s0
	s_delay_alu instid0(SALU_CYCLE_1)
	s_xor_b32 s1, exec_lo, s1
	s_cbranch_execz .LBB24_17
; %bb.12:                               ;   in Loop: Header=BB24_10 Depth=3
	v_cmp_ne_u32_e64 s0, v22, v2
                                        ; implicit-def: $vgpr21
	s_and_saveexec_b32 s43, s0
	s_delay_alu instid0(SALU_CYCLE_1)
	s_xor_b32 s0, exec_lo, s43
	s_cbranch_execz .LBB24_14
; %bb.13:                               ;   in Loop: Header=BB24_10 Depth=3
	v_ashrrev_i32_e32 v23, 31, v22
	s_delay_alu instid0(VALU_DEP_1) | instskip(NEXT) | instid1(VALU_DEP_1)
	v_mul_u64_e32 v[20:21], s[10:11], v[22:23]
	v_lshl_add_u64 v[20:21], v[20:21], 3, v[6:7]
	global_load_b64 v[20:21], v[20:21], off
.LBB24_14:                              ;   in Loop: Header=BB24_10 Depth=3
	s_wait_xcnt 0x0
	s_and_not1_saveexec_b32 s0, s0
	s_cbranch_execz .LBB24_16
; %bb.15:                               ;   in Loop: Header=BB24_10 Depth=3
	s_wait_loadcnt 0x0
	global_load_b32 v20, v[10:11], off
	v_mov_b32_e32 v21, 0
.LBB24_16:                              ;   in Loop: Header=BB24_10 Depth=3
	s_wait_xcnt 0x0
	s_or_b32 exec_lo, exec_lo, s0
                                        ; implicit-def: $vgpr22
.LBB24_17:                              ;   in Loop: Header=BB24_10 Depth=3
	s_and_not1_saveexec_b32 s0, s1
	s_cbranch_execz .LBB24_19
; %bb.18:                               ;   in Loop: Header=BB24_10 Depth=3
	v_ashrrev_i32_e32 v23, 31, v22
	s_wait_loadcnt 0x0
	s_delay_alu instid0(VALU_DEP_1)
	v_lshl_add_u64 v[20:21], v[22:23], 3, v[8:9]
	global_load_b64 v[20:21], v[20:21], off
	s_wait_loadcnt 0x0
	v_xor_b32_e32 v21, 0x80000000, v21
.LBB24_19:                              ;   in Loop: Header=BB24_10 Depth=3
	s_or_b32 exec_lo, exec_lo, s0
.LBB24_20:                              ;   in Loop: Header=BB24_10 Depth=3
	s_delay_alu instid0(SALU_CYCLE_1)
	s_or_b32 exec_lo, exec_lo, s42
	v_dual_mov_b32 v19, 0 :: v_dual_add_nc_u32 v22, s41, v24
	s_wait_loadcnt 0x0
	ds_store_b64 v28, v[20:21]
	v_cmp_gt_i32_e64 s0, s29, v22
	s_and_b32 s1, s0, vcc_lo
	s_delay_alu instid0(SALU_CYCLE_1)
	s_and_saveexec_b32 s0, s1
	s_cbranch_execz .LBB24_22
; %bb.21:                               ;   in Loop: Header=BB24_10 Depth=3
	v_ashrrev_i32_e32 v23, 31, v22
	s_delay_alu instid0(VALU_DEP_1)
	v_lshl_add_u64 v[18:19], v[22:23], 3, v[14:15]
	global_load_b64 v[18:19], v[18:19], off
.LBB24_22:                              ;   in Loop: Header=BB24_10 Depth=3
	s_wait_xcnt 0x0
	s_or_b32 exec_lo, exec_lo, s0
	s_wait_loadcnt 0x0
	ds_store_b64 v29, v[18:19]
	s_wait_dscnt 0x0
	s_barrier_signal -1
	s_barrier_wait -1
	s_and_saveexec_b32 s0, s40
	s_cbranch_execz .LBB24_9
; %bb.23:                               ;   in Loop: Header=BB24_10 Depth=3
	global_load_b64 v[18:19], v[16:17], off
	ds_load_2addr_b64 v[20:23], v27 offset1:32
	ds_load_b128 v[34:37], v26
	ds_load_b128 v[38:41], v26 offset:16
	ds_load_2addr_b64 v[42:45], v27 offset0:64 offset1:96
	ds_load_b128 v[46:49], v26 offset:32
	ds_load_2addr_b64 v[50:53], v27 offset0:128 offset1:160
	s_wait_dscnt 0x4
	v_dual_mul_f32 v33, v21, v35 :: v_dual_mul_f32 v35, v20, v35
	s_wait_dscnt 0x2
	v_dual_mul_f32 v54, v43, v39 :: v_dual_mul_f32 v39, v42, v39
	s_delay_alu instid0(VALU_DEP_2) | instskip(SKIP_1) | instid1(VALU_DEP_2)
	v_dual_fma_f32 v20, v20, v34, -v33 :: v_dual_fmac_f32 v35, v21, v34
	v_dual_mul_f32 v21, v23, v37 :: v_dual_mul_f32 v33, v22, v37
	v_dual_fmac_f32 v39, v43, v38 :: v_dual_add_f32 v34, 0, v20
	s_delay_alu instid0(VALU_DEP_2) | instskip(NEXT) | instid1(VALU_DEP_3)
	v_dual_add_f32 v35, 0, v35 :: v_dual_fma_f32 v37, v22, v36, -v21
	v_dual_fmac_f32 v33, v23, v36 :: v_dual_fma_f32 v36, v42, v38, -v54
	ds_load_b128 v[20:23], v26 offset:48
	v_dual_mul_f32 v38, v45, v41 :: v_dual_mul_f32 v41, v44, v41
	v_add_f32_e32 v34, v34, v37
	s_delay_alu instid0(VALU_DEP_2) | instskip(NEXT) | instid1(VALU_DEP_3)
	v_dual_add_f32 v33, v35, v33 :: v_dual_fma_f32 v38, v44, v40, -v38
	v_fmac_f32_e32 v41, v45, v40
	s_delay_alu instid0(VALU_DEP_2) | instskip(SKIP_4) | instid1(VALU_DEP_2)
	v_dual_add_f32 v42, v34, v36 :: v_dual_add_f32 v33, v33, v39
	ds_load_2addr_b64 v[34:37], v27 offset0:192 offset1:224
	s_wait_dscnt 0x2
	v_dual_mul_f32 v39, v51, v47 :: v_dual_mul_f32 v47, v50, v47
	v_dual_add_f32 v54, v42, v38 :: v_dual_add_f32 v33, v33, v41
	v_fma_f32 v50, v50, v46, -v39
	ds_load_b128 v[38:41], v26 offset:64
	ds_load_2addr_b64 v[42:45], v30 offset1:32
	v_dual_fmac_f32 v47, v51, v46 :: v_dual_mul_f32 v46, v53, v49
	v_dual_mul_f32 v49, v52, v49 :: v_dual_add_f32 v50, v54, v50
	s_delay_alu instid0(VALU_DEP_2) | instskip(NEXT) | instid1(VALU_DEP_1)
	v_dual_add_f32 v33, v33, v47 :: v_dual_fma_f32 v46, v52, v48, -v46
	v_dual_fmac_f32 v49, v53, v48 :: v_dual_add_f32 v54, v50, v46
	s_delay_alu instid0(VALU_DEP_1) | instskip(SKIP_2) | instid1(VALU_DEP_1)
	v_add_f32_e32 v33, v33, v49
	s_wait_dscnt 0x2
	v_dual_mul_f32 v47, v35, v21 :: v_dual_mul_f32 v21, v34, v21
	v_dual_fma_f32 v34, v34, v20, -v47 :: v_dual_fmac_f32 v21, v35, v20
	v_dual_mul_f32 v20, v37, v23 :: v_dual_mul_f32 v23, v36, v23
	ds_load_b128 v[46:49], v26 offset:80
	ds_load_2addr_b64 v[50:53], v30 offset0:64 offset1:96
	s_wait_dscnt 0x2
	v_dual_add_f32 v34, v54, v34 :: v_dual_mul_f32 v35, v43, v39
	v_dual_fma_f32 v20, v36, v22, -v20 :: v_dual_add_f32 v21, v33, v21
	v_dual_fmac_f32 v23, v37, v22 :: v_dual_mul_f32 v33, v42, v39
	s_delay_alu instid0(VALU_DEP_3) | instskip(NEXT) | instid1(VALU_DEP_2)
	v_fma_f32 v22, v42, v38, -v35
	v_dual_add_f32 v20, v34, v20 :: v_dual_add_f32 v39, v21, v23
	s_delay_alu instid0(VALU_DEP_3) | instskip(NEXT) | instid1(VALU_DEP_2)
	v_dual_fmac_f32 v33, v43, v38 :: v_dual_mul_f32 v38, v45, v41
	v_add_f32_e32 v42, v20, v22
	ds_load_b128 v[20:23], v26 offset:96
	ds_load_2addr_b64 v[34:37], v30 offset0:128 offset1:160
	v_dual_mul_f32 v41, v44, v41 :: v_dual_fma_f32 v38, v44, v40, -v38
	v_add_f32_e32 v33, v39, v33
	s_wait_dscnt 0x2
	s_delay_alu instid0(VALU_DEP_2) | instskip(NEXT) | instid1(VALU_DEP_3)
	v_dual_mul_f32 v43, v51, v47 :: v_dual_fmac_f32 v41, v45, v40
	v_add_f32_e32 v38, v42, v38
	s_delay_alu instid0(VALU_DEP_2) | instskip(SKIP_1) | instid1(VALU_DEP_2)
	v_dual_mul_f32 v47, v50, v47 :: v_dual_fma_f32 v39, v50, v46, -v43
	v_mul_f32_e32 v40, v53, v49
	v_dual_add_f32 v33, v33, v41 :: v_dual_fmac_f32 v47, v51, v46
	s_delay_alu instid0(VALU_DEP_3) | instskip(NEXT) | instid1(VALU_DEP_3)
	v_dual_mul_f32 v49, v52, v49 :: v_dual_add_f32 v46, v38, v39
	v_fma_f32 v50, v52, v48, -v40
	ds_load_b128 v[38:41], v26 offset:112
	ds_load_2addr_b64 v[42:45], v30 offset0:192 offset1:224
	s_wait_dscnt 0x2
	v_dual_add_f32 v33, v33, v47 :: v_dual_mul_f32 v51, v35, v21
	v_dual_fmac_f32 v49, v53, v48 :: v_dual_add_f32 v46, v46, v50
	s_delay_alu instid0(VALU_DEP_2) | instskip(NEXT) | instid1(VALU_DEP_1)
	v_dual_mul_f32 v21, v34, v21 :: v_dual_fma_f32 v34, v34, v20, -v51
	v_dual_add_f32 v33, v33, v49 :: v_dual_fmac_f32 v21, v35, v20
	s_delay_alu instid0(VALU_DEP_2) | instskip(SKIP_3) | instid1(VALU_DEP_1)
	v_dual_add_f32 v20, v46, v34 :: v_dual_mul_f32 v34, v37, v23
	ds_load_b128 v[46:49], v26 offset:128
	ds_load_2addr_b64 v[50:53], v31 offset1:32
	v_dual_mul_f32 v23, v36, v23 :: v_dual_add_f32 v21, v33, v21
	v_dual_fma_f32 v33, v36, v22, -v34 :: v_dual_fmac_f32 v23, v37, v22
	s_wait_dscnt 0x2
	v_dual_mul_f32 v22, v43, v39 :: v_dual_mul_f32 v39, v42, v39
	s_delay_alu instid0(VALU_DEP_2) | instskip(NEXT) | instid1(VALU_DEP_2)
	v_dual_add_f32 v33, v20, v33 :: v_dual_add_f32 v54, v21, v23
	v_dual_fma_f32 v42, v42, v38, -v22 :: v_dual_fmac_f32 v39, v43, v38
	v_dual_mul_f32 v38, v45, v41 :: v_dual_mul_f32 v41, v44, v41
	ds_load_b128 v[20:23], v26 offset:144
	ds_load_2addr_b64 v[34:37], v31 offset0:64 offset1:96
	v_dual_add_f32 v33, v33, v42 :: v_dual_add_f32 v39, v54, v39
	v_dual_fma_f32 v38, v44, v40, -v38 :: v_dual_fmac_f32 v41, v45, v40
	s_wait_dscnt 0x2
	v_dual_mul_f32 v40, v51, v47 :: v_dual_mul_f32 v47, v50, v47
	s_delay_alu instid0(VALU_DEP_2) | instskip(NEXT) | instid1(VALU_DEP_2)
	v_dual_add_f32 v33, v33, v38 :: v_dual_add_f32 v54, v39, v41
	v_dual_fma_f32 v50, v50, v46, -v40 :: v_dual_fmac_f32 v47, v51, v46
	ds_load_b128 v[38:41], v26 offset:160
	ds_load_2addr_b64 v[42:45], v31 offset0:128 offset1:160
	v_dual_mul_f32 v46, v53, v49 :: v_dual_mul_f32 v49, v52, v49
	v_dual_add_f32 v33, v33, v50 :: v_dual_add_f32 v47, v54, v47
	s_delay_alu instid0(VALU_DEP_2) | instskip(SKIP_2) | instid1(VALU_DEP_2)
	v_dual_fma_f32 v46, v52, v48, -v46 :: v_dual_fmac_f32 v49, v53, v48
	s_wait_dscnt 0x2
	v_dual_mul_f32 v50, v35, v21 :: v_dual_mul_f32 v21, v34, v21
	v_dual_add_f32 v33, v33, v46 :: v_dual_add_f32 v54, v47, v49
	s_delay_alu instid0(VALU_DEP_2)
	v_dual_fma_f32 v34, v34, v20, -v50 :: v_dual_fmac_f32 v21, v35, v20
	v_mul_f32_e32 v20, v37, v23
	ds_load_b128 v[46:49], v26 offset:176
	ds_load_2addr_b64 v[50:53], v31 offset0:192 offset1:224
	v_dual_mul_f32 v23, v36, v23 :: v_dual_add_f32 v33, v33, v34
	s_wait_dscnt 0x2
	v_dual_add_f32 v21, v54, v21 :: v_dual_mul_f32 v34, v43, v39
	s_delay_alu instid0(VALU_DEP_2) | instskip(NEXT) | instid1(VALU_DEP_1)
	v_dual_fma_f32 v20, v36, v22, -v20 :: v_dual_fmac_f32 v23, v37, v22
	v_dual_fma_f32 v22, v42, v38, -v34 :: v_dual_add_f32 v20, v33, v20
	v_dual_mul_f32 v33, v42, v39 :: v_dual_mul_f32 v34, v45, v41
	s_delay_alu instid0(VALU_DEP_3) | instskip(NEXT) | instid1(VALU_DEP_2)
	v_dual_add_f32 v39, v21, v23 :: v_dual_mul_f32 v41, v44, v41
	v_fmac_f32_e32 v33, v43, v38
	s_delay_alu instid0(VALU_DEP_4) | instskip(NEXT) | instid1(VALU_DEP_4)
	v_add_f32_e32 v38, v20, v22
	v_fma_f32 v42, v44, v40, -v34
	ds_load_b128 v[20:23], v26 offset:192
	ds_load_2addr_b64 v[34:37], v32 offset1:32
	s_wait_dscnt 0x2
	v_dual_mul_f32 v43, v51, v47 :: v_dual_fmac_f32 v41, v45, v40
	v_dual_add_f32 v33, v39, v33 :: v_dual_add_f32 v38, v38, v42
	s_delay_alu instid0(VALU_DEP_2) | instskip(SKIP_1) | instid1(VALU_DEP_2)
	v_dual_mul_f32 v47, v50, v47 :: v_dual_fma_f32 v39, v50, v46, -v43
	v_mul_f32_e32 v50, v53, v49
	v_dual_add_f32 v33, v33, v41 :: v_dual_fmac_f32 v47, v51, v46
	s_delay_alu instid0(VALU_DEP_3)
	v_dual_add_f32 v46, v38, v39 :: v_dual_mul_f32 v49, v52, v49
	ds_load_b128 v[38:41], v26 offset:208
	ds_load_2addr_b64 v[42:45], v32 offset0:64 offset1:96
	v_dual_add_f32 v33, v33, v47 :: v_dual_fma_f32 v47, v52, v48, -v50
	s_wait_dscnt 0x2
	v_dual_fmac_f32 v49, v53, v48 :: v_dual_mul_f32 v48, v35, v21
	v_mul_f32_e32 v21, v34, v21
	s_delay_alu instid0(VALU_DEP_2) | instskip(NEXT) | instid1(VALU_DEP_2)
	v_dual_add_f32 v54, v46, v47 :: v_dual_add_f32 v33, v33, v49
	v_dual_fma_f32 v34, v34, v20, -v48 :: v_dual_fmac_f32 v21, v35, v20
	v_dual_mul_f32 v20, v37, v23 :: v_dual_mul_f32 v23, v36, v23
	ds_load_b128 v[46:49], v26 offset:224
	ds_load_2addr_b64 v[50:53], v32 offset0:128 offset1:160
	v_dual_add_f32 v34, v54, v34 :: v_dual_add_f32 v21, v33, v21
	v_dual_fma_f32 v20, v36, v22, -v20 :: v_dual_fmac_f32 v23, v37, v22
	s_wait_dscnt 0x2
	v_dual_mul_f32 v33, v42, v39 :: v_dual_mul_f32 v39, v43, v39
	s_delay_alu instid0(VALU_DEP_2) | instskip(SKIP_4) | instid1(VALU_DEP_2)
	v_dual_add_f32 v54, v34, v20 :: v_dual_add_f32 v55, v21, v23
	ds_load_b128 v[20:23], v26 offset:240
	ds_load_2addr_b64 v[34:37], v32 offset0:192 offset1:224
	v_dual_fmac_f32 v33, v43, v38 :: v_dual_mul_f32 v43, v44, v41
	v_dual_fma_f32 v38, v42, v38, -v39 :: v_dual_mul_f32 v39, v45, v41
	v_dual_add_f32 v33, v55, v33 :: v_dual_fmac_f32 v43, v45, v40
	s_delay_alu instid0(VALU_DEP_2) | instskip(SKIP_2) | instid1(VALU_DEP_3)
	v_dual_add_f32 v38, v54, v38 :: v_dual_fma_f32 v39, v44, v40, -v39
	s_wait_dscnt 0x2
	v_dual_mul_f32 v41, v50, v47 :: v_dual_mul_f32 v40, v51, v47
	v_dual_add_f32 v33, v33, v43 :: v_dual_mul_f32 v42, v52, v49
	s_delay_alu instid0(VALU_DEP_2) | instskip(NEXT) | instid1(VALU_DEP_3)
	v_dual_add_f32 v38, v38, v39 :: v_dual_fmac_f32 v41, v51, v46
	v_dual_fma_f32 v39, v50, v46, -v40 :: v_dual_mul_f32 v40, v53, v49
	s_delay_alu instid0(VALU_DEP_3) | instskip(NEXT) | instid1(VALU_DEP_3)
	v_fmac_f32_e32 v42, v53, v48
	v_add_f32_e32 v33, v33, v41
	s_wait_dscnt 0x0
	v_mul_f32_e32 v41, v34, v21
	v_dual_add_f32 v38, v38, v39 :: v_dual_fma_f32 v39, v52, v48, -v40
	s_delay_alu instid0(VALU_DEP_3) | instskip(NEXT) | instid1(VALU_DEP_3)
	v_dual_mul_f32 v21, v35, v21 :: v_dual_add_f32 v33, v33, v42
	v_dual_fmac_f32 v41, v35, v20 :: v_dual_mul_f32 v35, v36, v23
	s_delay_alu instid0(VALU_DEP_3) | instskip(NEXT) | instid1(VALU_DEP_3)
	v_add_f32_e32 v38, v38, v39
	v_dual_fma_f32 v20, v34, v20, -v21 :: v_dual_mul_f32 v23, v37, v23
	s_delay_alu instid0(VALU_DEP_3) | instskip(NEXT) | instid1(VALU_DEP_2)
	v_add_f32_e32 v21, v33, v41
	v_dual_fmac_f32 v35, v37, v22 :: v_dual_add_f32 v33, v38, v20
	s_delay_alu instid0(VALU_DEP_3) | instskip(SKIP_1) | instid1(VALU_DEP_3)
	v_fma_f32 v34, v36, v22, -v23
	v_mov_b64_e32 v[22:23], s[22:23]
	v_add_f32_e32 v20, v21, v35
	s_delay_alu instid0(VALU_DEP_3) | instskip(NEXT) | instid1(VALU_DEP_2)
	v_add_f32_e32 v34, v33, v34
	v_pk_mul_f32 v[20:21], v[22:23], v[20:21] op_sel_hi:[1,0]
	v_mov_b64_e32 v[22:23], s[34:35]
	s_delay_alu instid0(VALU_DEP_1) | instskip(SKIP_1) | instid1(VALU_DEP_2)
	v_pk_fma_f32 v[36:37], v[22:23], v[34:35], v[20:21] op_sel_hi:[1,0,1]
	v_pk_fma_f32 v[20:21], v[22:23], v[34:35], v[20:21] neg_lo:[0,0,1] neg_hi:[0,0,1]
	v_mov_b32_e32 v21, v37
	s_wait_loadcnt 0x0
	s_delay_alu instid0(VALU_DEP_1)
	v_pk_add_f32 v[18:19], v[18:19], v[20:21]
	global_store_b64 v[16:17], v[18:19], off
	s_branch .LBB24_9
.LBB24_24:
	s_endpgm
	.section	.rodata,"a",@progbits
	.p2align	6, 0x0
	.amdhsa_kernel _ZL24rocblas_symm_hemm_kernelILb1ELb0ELi32EPK19rocblas_complex_numIfES3_PS1_EvbiiT2_T3_lllS6_lllT4_llli
		.amdhsa_group_segment_fixed_size 16384
		.amdhsa_private_segment_fixed_size 0
		.amdhsa_kernarg_size 384
		.amdhsa_user_sgpr_count 2
		.amdhsa_user_sgpr_dispatch_ptr 0
		.amdhsa_user_sgpr_queue_ptr 0
		.amdhsa_user_sgpr_kernarg_segment_ptr 1
		.amdhsa_user_sgpr_dispatch_id 0
		.amdhsa_user_sgpr_kernarg_preload_length 0
		.amdhsa_user_sgpr_kernarg_preload_offset 0
		.amdhsa_user_sgpr_private_segment_size 0
		.amdhsa_wavefront_size32 1
		.amdhsa_uses_dynamic_stack 0
		.amdhsa_enable_private_segment 0
		.amdhsa_system_sgpr_workgroup_id_x 1
		.amdhsa_system_sgpr_workgroup_id_y 1
		.amdhsa_system_sgpr_workgroup_id_z 1
		.amdhsa_system_sgpr_workgroup_info 0
		.amdhsa_system_vgpr_workitem_id 1
		.amdhsa_next_free_vgpr 56
		.amdhsa_next_free_sgpr 44
		.amdhsa_named_barrier_count 0
		.amdhsa_reserve_vcc 1
		.amdhsa_float_round_mode_32 0
		.amdhsa_float_round_mode_16_64 0
		.amdhsa_float_denorm_mode_32 3
		.amdhsa_float_denorm_mode_16_64 3
		.amdhsa_fp16_overflow 0
		.amdhsa_memory_ordered 1
		.amdhsa_forward_progress 1
		.amdhsa_inst_pref_size 21
		.amdhsa_round_robin_scheduling 0
		.amdhsa_exception_fp_ieee_invalid_op 0
		.amdhsa_exception_fp_denorm_src 0
		.amdhsa_exception_fp_ieee_div_zero 0
		.amdhsa_exception_fp_ieee_overflow 0
		.amdhsa_exception_fp_ieee_underflow 0
		.amdhsa_exception_fp_ieee_inexact 0
		.amdhsa_exception_int_div_zero 0
	.end_amdhsa_kernel
	.section	.text._ZL24rocblas_symm_hemm_kernelILb1ELb0ELi32EPK19rocblas_complex_numIfES3_PS1_EvbiiT2_T3_lllS6_lllT4_llli,"axG",@progbits,_ZL24rocblas_symm_hemm_kernelILb1ELb0ELi32EPK19rocblas_complex_numIfES3_PS1_EvbiiT2_T3_lllS6_lllT4_llli,comdat
.Lfunc_end24:
	.size	_ZL24rocblas_symm_hemm_kernelILb1ELb0ELi32EPK19rocblas_complex_numIfES3_PS1_EvbiiT2_T3_lllS6_lllT4_llli, .Lfunc_end24-_ZL24rocblas_symm_hemm_kernelILb1ELb0ELi32EPK19rocblas_complex_numIfES3_PS1_EvbiiT2_T3_lllS6_lllT4_llli
                                        ; -- End function
	.set _ZL24rocblas_symm_hemm_kernelILb1ELb0ELi32EPK19rocblas_complex_numIfES3_PS1_EvbiiT2_T3_lllS6_lllT4_llli.num_vgpr, 56
	.set _ZL24rocblas_symm_hemm_kernelILb1ELb0ELi32EPK19rocblas_complex_numIfES3_PS1_EvbiiT2_T3_lllS6_lllT4_llli.num_agpr, 0
	.set _ZL24rocblas_symm_hemm_kernelILb1ELb0ELi32EPK19rocblas_complex_numIfES3_PS1_EvbiiT2_T3_lllS6_lllT4_llli.numbered_sgpr, 44
	.set _ZL24rocblas_symm_hemm_kernelILb1ELb0ELi32EPK19rocblas_complex_numIfES3_PS1_EvbiiT2_T3_lllS6_lllT4_llli.num_named_barrier, 0
	.set _ZL24rocblas_symm_hemm_kernelILb1ELb0ELi32EPK19rocblas_complex_numIfES3_PS1_EvbiiT2_T3_lllS6_lllT4_llli.private_seg_size, 0
	.set _ZL24rocblas_symm_hemm_kernelILb1ELb0ELi32EPK19rocblas_complex_numIfES3_PS1_EvbiiT2_T3_lllS6_lllT4_llli.uses_vcc, 1
	.set _ZL24rocblas_symm_hemm_kernelILb1ELb0ELi32EPK19rocblas_complex_numIfES3_PS1_EvbiiT2_T3_lllS6_lllT4_llli.uses_flat_scratch, 0
	.set _ZL24rocblas_symm_hemm_kernelILb1ELb0ELi32EPK19rocblas_complex_numIfES3_PS1_EvbiiT2_T3_lllS6_lllT4_llli.has_dyn_sized_stack, 0
	.set _ZL24rocblas_symm_hemm_kernelILb1ELb0ELi32EPK19rocblas_complex_numIfES3_PS1_EvbiiT2_T3_lllS6_lllT4_llli.has_recursion, 0
	.set _ZL24rocblas_symm_hemm_kernelILb1ELb0ELi32EPK19rocblas_complex_numIfES3_PS1_EvbiiT2_T3_lllS6_lllT4_llli.has_indirect_call, 0
	.section	.AMDGPU.csdata,"",@progbits
; Kernel info:
; codeLenInByte = 2572
; TotalNumSgprs: 46
; NumVgprs: 56
; ScratchSize: 0
; MemoryBound: 0
; FloatMode: 240
; IeeeMode: 1
; LDSByteSize: 16384 bytes/workgroup (compile time only)
; SGPRBlocks: 0
; VGPRBlocks: 3
; NumSGPRsForWavesPerEU: 46
; NumVGPRsForWavesPerEU: 56
; NamedBarCnt: 0
; Occupancy: 16
; WaveLimiterHint : 1
; COMPUTE_PGM_RSRC2:SCRATCH_EN: 0
; COMPUTE_PGM_RSRC2:USER_SGPR: 2
; COMPUTE_PGM_RSRC2:TRAP_HANDLER: 0
; COMPUTE_PGM_RSRC2:TGID_X_EN: 1
; COMPUTE_PGM_RSRC2:TGID_Y_EN: 1
; COMPUTE_PGM_RSRC2:TGID_Z_EN: 1
; COMPUTE_PGM_RSRC2:TIDIG_COMP_CNT: 1
	.section	.text._ZL24rocblas_symm_hemm_kernelILb1ELb1ELi32EPK19rocblas_complex_numIfES3_PS1_EvbiiT2_T3_lllS6_lllT4_llli,"axG",@progbits,_ZL24rocblas_symm_hemm_kernelILb1ELb1ELi32EPK19rocblas_complex_numIfES3_PS1_EvbiiT2_T3_lllS6_lllT4_llli,comdat
	.globl	_ZL24rocblas_symm_hemm_kernelILb1ELb1ELi32EPK19rocblas_complex_numIfES3_PS1_EvbiiT2_T3_lllS6_lllT4_llli ; -- Begin function _ZL24rocblas_symm_hemm_kernelILb1ELb1ELi32EPK19rocblas_complex_numIfES3_PS1_EvbiiT2_T3_lllS6_lllT4_llli
	.p2align	8
	.type	_ZL24rocblas_symm_hemm_kernelILb1ELb1ELi32EPK19rocblas_complex_numIfES3_PS1_EvbiiT2_T3_lllS6_lllT4_llli,@function
_ZL24rocblas_symm_hemm_kernelILb1ELb1ELi32EPK19rocblas_complex_numIfES3_PS1_EvbiiT2_T3_lllS6_lllT4_llli: ; @_ZL24rocblas_symm_hemm_kernelILb1ELb1ELi32EPK19rocblas_complex_numIfES3_PS1_EvbiiT2_T3_lllS6_lllT4_llli
; %bb.0:
	s_load_b512 s[4:19], s[0:1], 0x10
	s_wait_kmcnt 0x0
	s_load_b64 s[34:35], s[4:5], 0x0
	s_wait_kmcnt 0x0
	s_cmp_eq_f32 s34, 0
	s_cselect_b32 s2, -1, 0
	s_cmp_eq_f32 s35, 0
	s_cselect_b32 s3, -1, 0
	s_delay_alu instid0(SALU_CYCLE_1) | instskip(NEXT) | instid1(SALU_CYCLE_1)
	s_and_b32 s2, s2, s3
	s_and_b32 vcc_lo, exec_lo, s2
	s_cbranch_vccnz .LBB25_24
; %bb.1:
	s_load_b32 s31, s[0:1], 0x78
	s_bfe_u32 s2, ttmp6, 0x40014
	s_lshr_b32 s4, ttmp7, 16
	s_add_co_i32 s2, s2, 1
	s_bfe_u32 s5, ttmp6, 0x40008
	s_mul_i32 s2, s4, s2
	s_getreg_b32 s3, hwreg(HW_REG_IB_STS2, 6, 4)
	s_add_co_i32 s5, s5, s2
	s_cmp_eq_u32 s3, 0
	s_cselect_b32 s4, s4, s5
	s_wait_kmcnt 0x0
	s_cmp_ge_u32 s4, s31
	s_cbranch_scc1 .LBB25_24
; %bb.2:
	s_clause 0x1
	s_load_b96 s[28:30], s[0:1], 0x0
	s_load_b256 s[20:27], s[0:1], 0x50
	s_lshl_b64 s[36:37], s[8:9], 3
	v_and_b32_e32 v24, 0x3ff, v0
	v_bfe_u32 v25, v0, 10, 10
	s_load_b64 s[8:9], s[0:1], 0x70
	s_mov_b32 s5, 0
	s_add_nc_u64 s[6:7], s[6:7], s[36:37]
	s_delay_alu instid0(VALU_DEP_1) | instskip(NEXT) | instid1(VALU_DEP_1)
	v_dual_lshlrev_b32 v26, 8, v24 :: v_dual_lshlrev_b32 v1, 3, v25
	v_or_b32_e32 v27, 0x2000, v1
	s_delay_alu instid0(VALU_DEP_1)
	v_dual_add_nc_u32 v28, v26, v1 :: v_dual_add_nc_u32 v29, v27, v26
	s_wait_kmcnt 0x0
	s_bitcmp1_b32 s28, 0
	v_add_nc_u32_e32 v31, 0x800, v27
	s_cselect_b32 s2, -1, 0
	s_lshl_b64 s[38:39], s[24:25], 3
	s_add_co_i32 s24, s30, -1
	s_bfe_u32 s28, ttmp6, 0x4000c
	s_bfe_u32 s40, ttmp6, 0x40010
	s_ashr_i32 s42, s24, 31
	s_and_b32 s33, ttmp7, 0xffff
	s_add_co_i32 s28, s28, 1
	s_add_co_i32 s40, s40, 1
	s_lshr_b32 s42, s42, 27
	s_and_b32 s25, ttmp6, 15
	s_bfe_u32 s41, ttmp6, 0x40004
	s_mul_i32 s28, ttmp9, s28
	s_mul_i32 s40, s33, s40
	s_add_co_i32 s24, s24, s42
	s_lshl_b64 s[16:17], s[16:17], 3
	s_add_co_i32 s25, s25, s28
	s_add_co_i32 s41, s41, s40
	s_ashr_i32 s24, s24, 5
	s_cmp_eq_u32 s3, 0
	s_add_nc_u64 s[14:15], s[14:15], s[16:17]
	s_cselect_b32 s3, ttmp9, s25
	s_cselect_b32 s25, s33, s41
	v_lshl_add_u32 v0, s3, 5, v24
	v_lshl_add_u32 v4, s25, 5, v25
	s_add_nc_u64 s[16:17], s[22:23], s[38:39]
	s_cmp_le_i32 s25, s24
	v_add_nc_u32_e32 v32, 0x1000, v27
	v_ashrrev_i32_e32 v1, 31, v0
	v_cmp_gt_i32_e64 s3, s29, v0
	v_sub_nc_u32_e32 v30, 0, v4
	v_add_nc_u32_e32 v33, 0x1800, v27
	s_cselect_b32 s28, -1, 0
	v_lshlrev_b64_e32 v[2:3], 3, v[0:1]
	s_cmp_gt_i32 s30, 0
	s_cselect_b32 s33, -1, 0
	s_delay_alu instid0(VALU_DEP_1)
	v_add_nc_u64_e32 v[0:1], s[14:15], v[2:3]
	v_add_nc_u64_e32 v[2:3], s[16:17], v[2:3]
	s_add_nc_u64 s[14:15], s[0:1], 0x80
	s_mov_b32 s16, s35
	s_mov_b32 s17, s34
	s_branch .LBB25_4
.LBB25_3:                               ;   in Loop: Header=BB25_4 Depth=1
	s_add_co_i32 s4, s4, 0x10000
	s_delay_alu instid0(SALU_CYCLE_1)
	s_cmp_lt_u32 s4, s31
	s_cbranch_scc0 .LBB25_24
.LBB25_4:                               ; =>This Loop Header: Depth=1
                                        ;     Child Loop BB25_7 Depth 2
                                        ;       Child Loop BB25_10 Depth 3
	s_and_not1_b32 vcc_lo, exec_lo, s28
	s_cbranch_vccnz .LBB25_3
; %bb.5:                                ;   in Loop: Header=BB25_4 Depth=1
	s_load_b32 s1, s[14:15], 0x4
	s_mul_u64 s[36:37], s[8:9], s[4:5]
	s_mul_u64 s[38:39], s[20:21], s[4:5]
	;; [unrolled: 1-line block ×3, first 2 shown]
	v_mov_b32_e32 v34, v30
	v_lshl_add_u64 v[4:5], s[38:39], 3, v[0:1]
	v_lshl_add_u64 v[6:7], s[36:37], 3, v[2:3]
	s_lshl_b64 s[22:23], s[22:23], 3
	s_mov_b32 s36, s25
	s_add_nc_u64 s[22:23], s[6:7], s[22:23]
	s_wait_kmcnt 0x0
	s_lshl_b32 s29, s1, 5
	s_branch .LBB25_7
.LBB25_6:                               ;   in Loop: Header=BB25_7 Depth=2
	v_subrev_nc_u32_e32 v34, s29, v34
	s_add_co_i32 s36, s36, s1
	s_delay_alu instid0(SALU_CYCLE_1)
	s_cmp_gt_i32 s36, s24
	s_cbranch_scc1 .LBB25_3
.LBB25_7:                               ;   Parent Loop BB25_4 Depth=1
                                        ; =>  This Loop Header: Depth=2
                                        ;       Child Loop BB25_10 Depth 3
	s_and_not1_b32 vcc_lo, exec_lo, s33
	s_cbranch_vccnz .LBB25_6
; %bb.8:                                ;   in Loop: Header=BB25_7 Depth=2
	v_lshl_add_u32 v8, s36, 5, v25
	s_mov_b32 s38, 0
	s_delay_alu instid0(VALU_DEP_1) | instskip(SKIP_1) | instid1(VALU_DEP_2)
	v_ashrrev_i32_e32 v9, 31, v8
	v_cmp_gt_i32_e32 vcc_lo, s30, v8
	v_mul_u64_e32 v[10:11], s[10:11], v[8:9]
	v_mul_u64_e32 v[16:17], s[26:27], v[8:9]
	v_lshlrev_b64_e32 v[14:15], 3, v[8:9]
	v_add_nc_u32_e32 v9, v24, v34
	s_and_b32 s37, s3, vcc_lo
	s_delay_alu instid0(VALU_DEP_2) | instskip(SKIP_2) | instid1(VALU_DEP_2)
	v_add_nc_u64_e32 v[12:13], s[22:23], v[14:15]
	v_lshl_add_u64 v[10:11], v[10:11], 3, s[22:23]
	v_lshl_add_u64 v[16:17], v[16:17], 3, v[6:7]
	v_add_nc_u64_e32 v[14:15], v[10:11], v[14:15]
	s_branch .LBB25_10
.LBB25_9:                               ;   in Loop: Header=BB25_10 Depth=3
	s_wait_xcnt 0x0
	s_or_b32 exec_lo, exec_lo, s0
	s_add_co_i32 s38, s38, 32
	s_wait_storecnt 0x0
	s_cmp_ge_i32 s38, s30
	s_barrier_signal -1
	s_barrier_wait -1
	s_cbranch_scc1 .LBB25_6
.LBB25_10:                              ;   Parent Loop BB25_4 Depth=1
                                        ;     Parent Loop BB25_7 Depth=2
                                        ; =>    This Inner Loop Header: Depth=3
	v_dual_add_nc_u32 v20, s38, v25 :: v_dual_mov_b32 v18, 0
	v_dual_mov_b32 v22, 0 :: v_dual_mov_b32 v23, 0
	s_delay_alu instid0(VALU_DEP_2) | instskip(SKIP_1) | instid1(SALU_CYCLE_1)
	v_cmp_gt_i32_e32 vcc_lo, s30, v20
	s_and_b32 s39, s3, vcc_lo
	s_and_saveexec_b32 s0, s39
	s_cbranch_execz .LBB25_12
; %bb.11:                               ;   in Loop: Header=BB25_10 Depth=3
	v_ashrrev_i32_e32 v21, 31, v20
	s_delay_alu instid0(VALU_DEP_1) | instskip(NEXT) | instid1(VALU_DEP_1)
	v_mul_u64_e32 v[20:21], s[18:19], v[20:21]
	v_lshl_add_u64 v[20:21], v[20:21], 3, v[4:5]
	global_load_b64 v[22:23], v[20:21], off
.LBB25_12:                              ;   in Loop: Header=BB25_10 Depth=3
	s_wait_xcnt 0x0
	s_or_b32 exec_lo, exec_lo, s0
	v_add_nc_u32_e32 v20, s38, v24
	s_mov_b32 s39, exec_lo
	s_wait_loadcnt 0x0
	ds_store_b64 v28, v[22:23]
	v_cndmask_b32_e64 v19, v8, v20, s2
	v_cndmask_b32_e64 v21, v20, v8, s2
	s_delay_alu instid0(VALU_DEP_1) | instskip(SKIP_3) | instid1(VALU_DEP_2)
	v_cmp_gt_i32_e32 vcc_lo, v19, v21
	v_cndmask_b32_e32 v35, v20, v8, vcc_lo
	v_cndmask_b32_e32 v36, v8, v20, vcc_lo
	v_cmp_le_i32_e32 vcc_lo, v19, v21
	v_dual_mov_b32 v19, 0 :: v_dual_max_i32 v35, v35, v36
	s_delay_alu instid0(VALU_DEP_1)
	v_cmpx_gt_i32_e64 s30, v35
	s_cbranch_execz .LBB25_22
; %bb.13:                               ;   in Loop: Header=BB25_10 Depth=3
                                        ; implicit-def: $vgpr19
	s_and_saveexec_b32 s0, vcc_lo
	s_delay_alu instid0(SALU_CYCLE_1)
	s_xor_b32 s0, exec_lo, s0
	s_cbranch_execz .LBB25_19
; %bb.14:                               ;   in Loop: Header=BB25_10 Depth=3
	v_add_nc_u32_e32 v18, s38, v9
	s_delay_alu instid0(VALU_DEP_1) | instskip(SKIP_1) | instid1(SALU_CYCLE_1)
	v_cmp_ne_u32_e32 vcc_lo, 0, v18
                                        ; implicit-def: $vgpr19
	s_and_saveexec_b32 s40, vcc_lo
	s_xor_b32 s40, exec_lo, s40
	s_cbranch_execz .LBB25_16
; %bb.15:                               ;   in Loop: Header=BB25_10 Depth=3
	v_ashrrev_i32_e32 v21, 31, v20
	s_delay_alu instid0(VALU_DEP_1)
	v_lshl_add_u64 v[18:19], v[20:21], 3, v[10:11]
	global_load_b64 v[18:19], v[18:19], off
.LBB25_16:                              ;   in Loop: Header=BB25_10 Depth=3
	s_wait_xcnt 0x0
	s_and_not1_saveexec_b32 s40, s40
	s_cbranch_execz .LBB25_18
; %bb.17:                               ;   in Loop: Header=BB25_10 Depth=3
	s_wait_loadcnt 0x0
	global_load_b32 v18, v[14:15], off
	v_mov_b32_e32 v19, 0
.LBB25_18:                              ;   in Loop: Header=BB25_10 Depth=3
	s_wait_xcnt 0x0
	s_or_b32 exec_lo, exec_lo, s40
                                        ; implicit-def: $vgpr20
.LBB25_19:                              ;   in Loop: Header=BB25_10 Depth=3
	s_and_not1_saveexec_b32 s0, s0
	s_cbranch_execz .LBB25_21
; %bb.20:                               ;   in Loop: Header=BB25_10 Depth=3
	v_ashrrev_i32_e32 v21, 31, v20
	s_wait_loadcnt 0x0
	s_delay_alu instid0(VALU_DEP_1) | instskip(NEXT) | instid1(VALU_DEP_1)
	v_mul_u64_e32 v[18:19], s[10:11], v[20:21]
	v_lshl_add_u64 v[18:19], v[18:19], 3, v[12:13]
	global_load_b64 v[18:19], v[18:19], off
	s_wait_loadcnt 0x0
	v_xor_b32_e32 v19, 0x80000000, v19
.LBB25_21:                              ;   in Loop: Header=BB25_10 Depth=3
	s_or_b32 exec_lo, exec_lo, s0
.LBB25_22:                              ;   in Loop: Header=BB25_10 Depth=3
	s_delay_alu instid0(SALU_CYCLE_1)
	s_or_b32 exec_lo, exec_lo, s39
	s_wait_loadcnt 0x0
	ds_store_b64 v29, v[18:19]
	s_wait_dscnt 0x0
	s_barrier_signal -1
	s_barrier_wait -1
	s_and_saveexec_b32 s0, s37
	s_cbranch_execz .LBB25_9
; %bb.23:                               ;   in Loop: Header=BB25_10 Depth=3
	global_load_b64 v[18:19], v[16:17], off
	ds_load_2addr_b64 v[20:23], v27 offset1:32
	ds_load_b128 v[36:39], v26
	ds_load_b128 v[40:43], v26 offset:16
	ds_load_2addr_b64 v[44:47], v27 offset0:64 offset1:96
	ds_load_b128 v[48:51], v26 offset:32
	ds_load_2addr_b64 v[52:55], v27 offset0:128 offset1:160
	s_wait_dscnt 0x4
	v_dual_mul_f32 v35, v21, v37 :: v_dual_mul_f32 v37, v20, v37
	s_wait_dscnt 0x2
	v_dual_mul_f32 v56, v45, v41 :: v_dual_mul_f32 v41, v44, v41
	s_delay_alu instid0(VALU_DEP_2) | instskip(SKIP_1) | instid1(VALU_DEP_3)
	v_dual_fma_f32 v20, v20, v36, -v35 :: v_dual_fmac_f32 v37, v21, v36
	v_dual_mul_f32 v21, v23, v39 :: v_dual_mul_f32 v35, v22, v39
	v_fmac_f32_e32 v41, v45, v40
	s_delay_alu instid0(VALU_DEP_3) | instskip(NEXT) | instid1(VALU_DEP_3)
	v_dual_add_f32 v36, 0, v20 :: v_dual_add_f32 v37, 0, v37
	v_dual_fma_f32 v39, v22, v38, -v21 :: v_dual_fmac_f32 v35, v23, v38
	v_fma_f32 v38, v44, v40, -v56
	ds_load_b128 v[20:23], v26 offset:48
	v_dual_mul_f32 v40, v47, v43 :: v_dual_mul_f32 v43, v46, v43
	v_add_f32_e32 v36, v36, v39
	s_delay_alu instid0(VALU_DEP_2) | instskip(NEXT) | instid1(VALU_DEP_3)
	v_dual_add_f32 v35, v37, v35 :: v_dual_fma_f32 v40, v46, v42, -v40
	v_fmac_f32_e32 v43, v47, v42
	s_delay_alu instid0(VALU_DEP_2) | instskip(SKIP_4) | instid1(VALU_DEP_2)
	v_dual_add_f32 v44, v36, v38 :: v_dual_add_f32 v35, v35, v41
	ds_load_2addr_b64 v[36:39], v27 offset0:192 offset1:224
	s_wait_dscnt 0x2
	v_dual_mul_f32 v41, v53, v49 :: v_dual_mul_f32 v49, v52, v49
	v_dual_add_f32 v56, v44, v40 :: v_dual_add_f32 v35, v35, v43
	v_fma_f32 v52, v52, v48, -v41
	ds_load_b128 v[40:43], v26 offset:64
	ds_load_2addr_b64 v[44:47], v31 offset1:32
	v_dual_fmac_f32 v49, v53, v48 :: v_dual_mul_f32 v48, v55, v51
	v_dual_mul_f32 v51, v54, v51 :: v_dual_add_f32 v52, v56, v52
	s_delay_alu instid0(VALU_DEP_2) | instskip(NEXT) | instid1(VALU_DEP_1)
	v_dual_add_f32 v35, v35, v49 :: v_dual_fma_f32 v48, v54, v50, -v48
	v_dual_fmac_f32 v51, v55, v50 :: v_dual_add_f32 v56, v52, v48
	s_wait_dscnt 0x2
	s_delay_alu instid0(VALU_DEP_1) | instskip(NEXT) | instid1(VALU_DEP_1)
	v_dual_add_f32 v35, v35, v51 :: v_dual_mul_f32 v49, v37, v21
	v_dual_mul_f32 v21, v36, v21 :: v_dual_fma_f32 v36, v36, v20, -v49
	s_delay_alu instid0(VALU_DEP_1)
	v_dual_fmac_f32 v21, v37, v20 :: v_dual_mul_f32 v20, v39, v23
	ds_load_b128 v[48:51], v26 offset:80
	ds_load_2addr_b64 v[52:55], v31 offset0:64 offset1:96
	v_dual_mul_f32 v23, v38, v23 :: v_dual_add_f32 v36, v56, v36
	s_wait_dscnt 0x2
	v_dual_mul_f32 v37, v45, v41 :: v_dual_fma_f32 v20, v38, v22, -v20
	v_add_f32_e32 v21, v35, v21
	s_delay_alu instid0(VALU_DEP_3) | instskip(NEXT) | instid1(VALU_DEP_3)
	v_dual_fmac_f32 v23, v39, v22 :: v_dual_mul_f32 v35, v44, v41
	v_fma_f32 v22, v44, v40, -v37
	s_delay_alu instid0(VALU_DEP_2) | instskip(NEXT) | instid1(VALU_DEP_3)
	v_dual_add_f32 v20, v36, v20 :: v_dual_add_f32 v41, v21, v23
	v_dual_fmac_f32 v35, v45, v40 :: v_dual_mul_f32 v40, v47, v43
	s_delay_alu instid0(VALU_DEP_2)
	v_add_f32_e32 v44, v20, v22
	ds_load_b128 v[20:23], v26 offset:96
	ds_load_2addr_b64 v[36:39], v31 offset0:128 offset1:160
	v_dual_mul_f32 v43, v46, v43 :: v_dual_fma_f32 v40, v46, v42, -v40
	v_add_f32_e32 v35, v41, v35
	s_wait_dscnt 0x2
	s_delay_alu instid0(VALU_DEP_2) | instskip(SKIP_2) | instid1(VALU_DEP_3)
	v_dual_mul_f32 v45, v53, v49 :: v_dual_fmac_f32 v43, v47, v42
	v_mul_f32_e32 v49, v52, v49
	v_add_f32_e32 v40, v44, v40
	v_dual_fma_f32 v41, v52, v48, -v45 :: v_dual_mul_f32 v42, v55, v51
	s_delay_alu instid0(VALU_DEP_3) | instskip(NEXT) | instid1(VALU_DEP_2)
	v_dual_fmac_f32 v49, v53, v48 :: v_dual_add_f32 v35, v35, v43
	v_dual_mul_f32 v51, v54, v51 :: v_dual_add_f32 v48, v40, v41
	s_delay_alu instid0(VALU_DEP_3)
	v_fma_f32 v52, v54, v50, -v42
	ds_load_b128 v[40:43], v26 offset:112
	ds_load_2addr_b64 v[44:47], v31 offset0:192 offset1:224
	v_add_f32_e32 v35, v35, v49
	s_wait_dscnt 0x2
	v_dual_fmac_f32 v51, v55, v50 :: v_dual_mul_f32 v53, v37, v21
	v_add_f32_e32 v48, v48, v52
	s_delay_alu instid0(VALU_DEP_2) | instskip(NEXT) | instid1(VALU_DEP_1)
	v_dual_mul_f32 v21, v36, v21 :: v_dual_fma_f32 v36, v36, v20, -v53
	v_dual_add_f32 v35, v35, v51 :: v_dual_fmac_f32 v21, v37, v20
	s_delay_alu instid0(VALU_DEP_2) | instskip(SKIP_3) | instid1(VALU_DEP_1)
	v_dual_add_f32 v20, v48, v36 :: v_dual_mul_f32 v36, v39, v23
	ds_load_b128 v[48:51], v26 offset:128
	ds_load_2addr_b64 v[52:55], v32 offset1:32
	v_dual_mul_f32 v23, v38, v23 :: v_dual_add_f32 v21, v35, v21
	v_dual_fma_f32 v35, v38, v22, -v36 :: v_dual_fmac_f32 v23, v39, v22
	s_wait_dscnt 0x2
	v_dual_mul_f32 v22, v45, v41 :: v_dual_mul_f32 v41, v44, v41
	s_delay_alu instid0(VALU_DEP_2) | instskip(NEXT) | instid1(VALU_DEP_2)
	v_add_f32_e32 v35, v20, v35
	v_dual_add_f32 v56, v21, v23 :: v_dual_fma_f32 v44, v44, v40, -v22
	s_delay_alu instid0(VALU_DEP_3)
	v_dual_fmac_f32 v41, v45, v40 :: v_dual_mul_f32 v40, v47, v43
	v_mul_f32_e32 v43, v46, v43
	ds_load_b128 v[20:23], v26 offset:144
	ds_load_2addr_b64 v[36:39], v32 offset0:64 offset1:96
	v_dual_add_f32 v35, v35, v44 :: v_dual_add_f32 v41, v56, v41
	v_dual_fma_f32 v40, v46, v42, -v40 :: v_dual_fmac_f32 v43, v47, v42
	s_wait_dscnt 0x2
	v_dual_mul_f32 v42, v53, v49 :: v_dual_mul_f32 v49, v52, v49
	s_delay_alu instid0(VALU_DEP_2) | instskip(NEXT) | instid1(VALU_DEP_2)
	v_dual_add_f32 v35, v35, v40 :: v_dual_add_f32 v56, v41, v43
	v_dual_fma_f32 v52, v52, v48, -v42 :: v_dual_fmac_f32 v49, v53, v48
	ds_load_b128 v[40:43], v26 offset:160
	ds_load_2addr_b64 v[44:47], v32 offset0:128 offset1:160
	v_dual_mul_f32 v48, v55, v51 :: v_dual_mul_f32 v51, v54, v51
	s_delay_alu instid0(VALU_DEP_1) | instskip(SKIP_2) | instid1(VALU_DEP_3)
	v_dual_add_f32 v35, v35, v52 :: v_dual_fma_f32 v48, v54, v50, -v48
	v_add_f32_e32 v49, v56, v49
	s_wait_dscnt 0x2
	v_dual_mul_f32 v52, v37, v21 :: v_dual_fmac_f32 v51, v55, v50
	s_delay_alu instid0(VALU_DEP_3) | instskip(NEXT) | instid1(VALU_DEP_2)
	v_dual_mul_f32 v21, v36, v21 :: v_dual_add_f32 v35, v35, v48
	v_dual_fma_f32 v36, v36, v20, -v52 :: v_dual_add_f32 v56, v49, v51
	s_delay_alu instid0(VALU_DEP_2)
	v_dual_fmac_f32 v21, v37, v20 :: v_dual_mul_f32 v20, v39, v23
	ds_load_b128 v[48:51], v26 offset:176
	ds_load_2addr_b64 v[52:55], v32 offset0:192 offset1:224
	v_dual_add_f32 v35, v35, v36 :: v_dual_mul_f32 v23, v38, v23
	s_wait_dscnt 0x2
	v_dual_fma_f32 v20, v38, v22, -v20 :: v_dual_mul_f32 v36, v45, v41
	s_delay_alu instid0(VALU_DEP_2) | instskip(NEXT) | instid1(VALU_DEP_2)
	v_dual_add_f32 v21, v56, v21 :: v_dual_fmac_f32 v23, v39, v22
	v_dual_add_f32 v20, v35, v20 :: v_dual_mul_f32 v35, v44, v41
	s_delay_alu instid0(VALU_DEP_3) | instskip(NEXT) | instid1(VALU_DEP_3)
	v_dual_fma_f32 v22, v44, v40, -v36 :: v_dual_mul_f32 v36, v47, v43
	v_add_f32_e32 v41, v21, v23
	s_delay_alu instid0(VALU_DEP_3) | instskip(NEXT) | instid1(VALU_DEP_3)
	v_dual_mul_f32 v43, v46, v43 :: v_dual_fmac_f32 v35, v45, v40
	v_add_f32_e32 v40, v20, v22
	s_delay_alu instid0(VALU_DEP_4)
	v_fma_f32 v44, v46, v42, -v36
	ds_load_b128 v[20:23], v26 offset:192
	ds_load_2addr_b64 v[36:39], v33 offset1:32
	s_wait_dscnt 0x2
	v_dual_fmac_f32 v43, v47, v42 :: v_dual_mul_f32 v45, v53, v49
	v_dual_add_f32 v35, v41, v35 :: v_dual_add_f32 v40, v40, v44
	s_delay_alu instid0(VALU_DEP_2) | instskip(NEXT) | instid1(VALU_DEP_2)
	v_dual_mul_f32 v49, v52, v49 :: v_dual_fma_f32 v41, v52, v48, -v45
	v_add_f32_e32 v35, v35, v43
	s_delay_alu instid0(VALU_DEP_2) | instskip(NEXT) | instid1(VALU_DEP_3)
	v_dual_mul_f32 v52, v55, v51 :: v_dual_fmac_f32 v49, v53, v48
	v_dual_mul_f32 v51, v54, v51 :: v_dual_add_f32 v48, v40, v41
	ds_load_b128 v[40:43], v26 offset:208
	ds_load_2addr_b64 v[44:47], v33 offset0:64 offset1:96
	v_dual_add_f32 v35, v35, v49 :: v_dual_fma_f32 v49, v54, v50, -v52
	s_wait_dscnt 0x2
	v_dual_fmac_f32 v51, v55, v50 :: v_dual_mul_f32 v50, v37, v21
	v_mul_f32_e32 v21, v36, v21
	s_delay_alu instid0(VALU_DEP_2) | instskip(NEXT) | instid1(VALU_DEP_2)
	v_dual_add_f32 v56, v48, v49 :: v_dual_add_f32 v35, v35, v51
	v_dual_fma_f32 v36, v36, v20, -v50 :: v_dual_fmac_f32 v21, v37, v20
	v_dual_mul_f32 v20, v39, v23 :: v_dual_mul_f32 v23, v38, v23
	ds_load_b128 v[48:51], v26 offset:224
	ds_load_2addr_b64 v[52:55], v33 offset0:128 offset1:160
	v_dual_add_f32 v36, v56, v36 :: v_dual_add_f32 v21, v35, v21
	v_dual_fma_f32 v20, v38, v22, -v20 :: v_dual_fmac_f32 v23, v39, v22
	s_wait_dscnt 0x2
	v_dual_mul_f32 v35, v44, v41 :: v_dual_mul_f32 v41, v45, v41
	s_delay_alu instid0(VALU_DEP_2) | instskip(SKIP_4) | instid1(VALU_DEP_2)
	v_dual_add_f32 v56, v36, v20 :: v_dual_add_f32 v57, v21, v23
	ds_load_b128 v[20:23], v26 offset:240
	ds_load_2addr_b64 v[36:39], v33 offset0:192 offset1:224
	v_dual_fmac_f32 v35, v45, v40 :: v_dual_mul_f32 v45, v46, v43
	v_dual_fma_f32 v40, v44, v40, -v41 :: v_dual_mul_f32 v41, v47, v43
	v_dual_add_f32 v35, v57, v35 :: v_dual_fmac_f32 v45, v47, v42
	s_delay_alu instid0(VALU_DEP_2) | instskip(SKIP_2) | instid1(VALU_DEP_3)
	v_dual_add_f32 v40, v56, v40 :: v_dual_fma_f32 v41, v46, v42, -v41
	s_wait_dscnt 0x2
	v_dual_mul_f32 v43, v52, v49 :: v_dual_mul_f32 v42, v53, v49
	v_dual_add_f32 v35, v35, v45 :: v_dual_mul_f32 v44, v54, v51
	s_delay_alu instid0(VALU_DEP_2) | instskip(NEXT) | instid1(VALU_DEP_3)
	v_dual_add_f32 v40, v40, v41 :: v_dual_fmac_f32 v43, v53, v48
	v_dual_fma_f32 v41, v52, v48, -v42 :: v_dual_mul_f32 v42, v55, v51
	s_delay_alu instid0(VALU_DEP_3) | instskip(SKIP_1) | instid1(VALU_DEP_3)
	v_fmac_f32_e32 v44, v55, v50
	s_wait_dscnt 0x0
	v_dual_add_f32 v35, v35, v43 :: v_dual_mul_f32 v43, v36, v21
	s_delay_alu instid0(VALU_DEP_3) | instskip(NEXT) | instid1(VALU_DEP_2)
	v_dual_add_f32 v40, v40, v41 :: v_dual_fma_f32 v41, v54, v50, -v42
	v_dual_mul_f32 v21, v37, v21 :: v_dual_add_f32 v35, v35, v44
	s_delay_alu instid0(VALU_DEP_3) | instskip(NEXT) | instid1(VALU_DEP_3)
	v_dual_fmac_f32 v43, v37, v20 :: v_dual_mul_f32 v37, v38, v23
	v_add_f32_e32 v40, v40, v41
	s_delay_alu instid0(VALU_DEP_3) | instskip(NEXT) | instid1(VALU_DEP_3)
	v_dual_fma_f32 v20, v36, v20, -v21 :: v_dual_mul_f32 v23, v39, v23
	v_add_f32_e32 v21, v35, v43
	s_delay_alu instid0(VALU_DEP_2) | instskip(NEXT) | instid1(VALU_DEP_3)
	v_dual_fmac_f32 v37, v39, v22 :: v_dual_add_f32 v35, v40, v20
	v_fma_f32 v36, v38, v22, -v23
	v_mov_b64_e32 v[22:23], s[16:17]
	s_delay_alu instid0(VALU_DEP_2) | instskip(NEXT) | instid1(VALU_DEP_1)
	v_dual_add_f32 v20, v21, v37 :: v_dual_add_f32 v36, v35, v36
	v_pk_mul_f32 v[20:21], v[22:23], v[20:21] op_sel_hi:[1,0]
	v_mov_b64_e32 v[22:23], s[34:35]
	s_delay_alu instid0(VALU_DEP_1) | instskip(SKIP_1) | instid1(VALU_DEP_2)
	v_pk_fma_f32 v[38:39], v[22:23], v[36:37], v[20:21] op_sel_hi:[1,0,1]
	v_pk_fma_f32 v[20:21], v[22:23], v[36:37], v[20:21] neg_lo:[0,0,1] neg_hi:[0,0,1]
	v_mov_b32_e32 v21, v39
	s_wait_loadcnt 0x0
	s_delay_alu instid0(VALU_DEP_1)
	v_pk_add_f32 v[18:19], v[18:19], v[20:21]
	global_store_b64 v[16:17], v[18:19], off
	s_branch .LBB25_9
.LBB25_24:
	s_endpgm
	.section	.rodata,"a",@progbits
	.p2align	6, 0x0
	.amdhsa_kernel _ZL24rocblas_symm_hemm_kernelILb1ELb1ELi32EPK19rocblas_complex_numIfES3_PS1_EvbiiT2_T3_lllS6_lllT4_llli
		.amdhsa_group_segment_fixed_size 16384
		.amdhsa_private_segment_fixed_size 0
		.amdhsa_kernarg_size 384
		.amdhsa_user_sgpr_count 2
		.amdhsa_user_sgpr_dispatch_ptr 0
		.amdhsa_user_sgpr_queue_ptr 0
		.amdhsa_user_sgpr_kernarg_segment_ptr 1
		.amdhsa_user_sgpr_dispatch_id 0
		.amdhsa_user_sgpr_kernarg_preload_length 0
		.amdhsa_user_sgpr_kernarg_preload_offset 0
		.amdhsa_user_sgpr_private_segment_size 0
		.amdhsa_wavefront_size32 1
		.amdhsa_uses_dynamic_stack 0
		.amdhsa_enable_private_segment 0
		.amdhsa_system_sgpr_workgroup_id_x 1
		.amdhsa_system_sgpr_workgroup_id_y 1
		.amdhsa_system_sgpr_workgroup_id_z 1
		.amdhsa_system_sgpr_workgroup_info 0
		.amdhsa_system_vgpr_workitem_id 1
		.amdhsa_next_free_vgpr 58
		.amdhsa_next_free_sgpr 43
		.amdhsa_named_barrier_count 0
		.amdhsa_reserve_vcc 1
		.amdhsa_float_round_mode_32 0
		.amdhsa_float_round_mode_16_64 0
		.amdhsa_float_denorm_mode_32 3
		.amdhsa_float_denorm_mode_16_64 3
		.amdhsa_fp16_overflow 0
		.amdhsa_memory_ordered 1
		.amdhsa_forward_progress 1
		.amdhsa_inst_pref_size 21
		.amdhsa_round_robin_scheduling 0
		.amdhsa_exception_fp_ieee_invalid_op 0
		.amdhsa_exception_fp_denorm_src 0
		.amdhsa_exception_fp_ieee_div_zero 0
		.amdhsa_exception_fp_ieee_overflow 0
		.amdhsa_exception_fp_ieee_underflow 0
		.amdhsa_exception_fp_ieee_inexact 0
		.amdhsa_exception_int_div_zero 0
	.end_amdhsa_kernel
	.section	.text._ZL24rocblas_symm_hemm_kernelILb1ELb1ELi32EPK19rocblas_complex_numIfES3_PS1_EvbiiT2_T3_lllS6_lllT4_llli,"axG",@progbits,_ZL24rocblas_symm_hemm_kernelILb1ELb1ELi32EPK19rocblas_complex_numIfES3_PS1_EvbiiT2_T3_lllS6_lllT4_llli,comdat
.Lfunc_end25:
	.size	_ZL24rocblas_symm_hemm_kernelILb1ELb1ELi32EPK19rocblas_complex_numIfES3_PS1_EvbiiT2_T3_lllS6_lllT4_llli, .Lfunc_end25-_ZL24rocblas_symm_hemm_kernelILb1ELb1ELi32EPK19rocblas_complex_numIfES3_PS1_EvbiiT2_T3_lllS6_lllT4_llli
                                        ; -- End function
	.set _ZL24rocblas_symm_hemm_kernelILb1ELb1ELi32EPK19rocblas_complex_numIfES3_PS1_EvbiiT2_T3_lllS6_lllT4_llli.num_vgpr, 58
	.set _ZL24rocblas_symm_hemm_kernelILb1ELb1ELi32EPK19rocblas_complex_numIfES3_PS1_EvbiiT2_T3_lllS6_lllT4_llli.num_agpr, 0
	.set _ZL24rocblas_symm_hemm_kernelILb1ELb1ELi32EPK19rocblas_complex_numIfES3_PS1_EvbiiT2_T3_lllS6_lllT4_llli.numbered_sgpr, 43
	.set _ZL24rocblas_symm_hemm_kernelILb1ELb1ELi32EPK19rocblas_complex_numIfES3_PS1_EvbiiT2_T3_lllS6_lllT4_llli.num_named_barrier, 0
	.set _ZL24rocblas_symm_hemm_kernelILb1ELb1ELi32EPK19rocblas_complex_numIfES3_PS1_EvbiiT2_T3_lllS6_lllT4_llli.private_seg_size, 0
	.set _ZL24rocblas_symm_hemm_kernelILb1ELb1ELi32EPK19rocblas_complex_numIfES3_PS1_EvbiiT2_T3_lllS6_lllT4_llli.uses_vcc, 1
	.set _ZL24rocblas_symm_hemm_kernelILb1ELb1ELi32EPK19rocblas_complex_numIfES3_PS1_EvbiiT2_T3_lllS6_lllT4_llli.uses_flat_scratch, 0
	.set _ZL24rocblas_symm_hemm_kernelILb1ELb1ELi32EPK19rocblas_complex_numIfES3_PS1_EvbiiT2_T3_lllS6_lllT4_llli.has_dyn_sized_stack, 0
	.set _ZL24rocblas_symm_hemm_kernelILb1ELb1ELi32EPK19rocblas_complex_numIfES3_PS1_EvbiiT2_T3_lllS6_lllT4_llli.has_recursion, 0
	.set _ZL24rocblas_symm_hemm_kernelILb1ELb1ELi32EPK19rocblas_complex_numIfES3_PS1_EvbiiT2_T3_lllS6_lllT4_llli.has_indirect_call, 0
	.section	.AMDGPU.csdata,"",@progbits
; Kernel info:
; codeLenInByte = 2596
; TotalNumSgprs: 45
; NumVgprs: 58
; ScratchSize: 0
; MemoryBound: 0
; FloatMode: 240
; IeeeMode: 1
; LDSByteSize: 16384 bytes/workgroup (compile time only)
; SGPRBlocks: 0
; VGPRBlocks: 3
; NumSGPRsForWavesPerEU: 45
; NumVGPRsForWavesPerEU: 58
; NamedBarCnt: 0
; Occupancy: 16
; WaveLimiterHint : 1
; COMPUTE_PGM_RSRC2:SCRATCH_EN: 0
; COMPUTE_PGM_RSRC2:USER_SGPR: 2
; COMPUTE_PGM_RSRC2:TRAP_HANDLER: 0
; COMPUTE_PGM_RSRC2:TGID_X_EN: 1
; COMPUTE_PGM_RSRC2:TGID_Y_EN: 1
; COMPUTE_PGM_RSRC2:TGID_Z_EN: 1
; COMPUTE_PGM_RSRC2:TIDIG_COMP_CNT: 1
	.section	.text._ZL24rocblas_symm_hemm_kernelILb1ELb0ELi32E19rocblas_complex_numIfEPKS1_PS1_EvbiiT2_T3_lllS6_lllT4_llli,"axG",@progbits,_ZL24rocblas_symm_hemm_kernelILb1ELb0ELi32E19rocblas_complex_numIfEPKS1_PS1_EvbiiT2_T3_lllS6_lllT4_llli,comdat
	.globl	_ZL24rocblas_symm_hemm_kernelILb1ELb0ELi32E19rocblas_complex_numIfEPKS1_PS1_EvbiiT2_T3_lllS6_lllT4_llli ; -- Begin function _ZL24rocblas_symm_hemm_kernelILb1ELb0ELi32E19rocblas_complex_numIfEPKS1_PS1_EvbiiT2_T3_lllS6_lllT4_llli
	.p2align	8
	.type	_ZL24rocblas_symm_hemm_kernelILb1ELb0ELi32E19rocblas_complex_numIfEPKS1_PS1_EvbiiT2_T3_lllS6_lllT4_llli,@function
_ZL24rocblas_symm_hemm_kernelILb1ELb0ELi32E19rocblas_complex_numIfEPKS1_PS1_EvbiiT2_T3_lllS6_lllT4_llli: ; @_ZL24rocblas_symm_hemm_kernelILb1ELb0ELi32E19rocblas_complex_numIfEPKS1_PS1_EvbiiT2_T3_lllS6_lllT4_llli
; %bb.0:
	s_clause 0x1
	s_load_b128 s[28:31], s[0:1], 0x0
	s_load_b32 s35, s[0:1], 0x10
	s_wait_kmcnt 0x0
	s_cmp_eq_f32 s31, 0
	s_cselect_b32 s2, -1, 0
	s_cmp_eq_f32 s35, 0
	s_cselect_b32 s3, -1, 0
	s_delay_alu instid0(SALU_CYCLE_1) | instskip(NEXT) | instid1(SALU_CYCLE_1)
	s_and_b32 s2, s2, s3
	s_and_b32 vcc_lo, exec_lo, s2
	s_cbranch_vccnz .LBB26_24
; %bb.1:
	s_load_b32 s33, s[0:1], 0x78
	s_bfe_u32 s2, ttmp6, 0x40014
	s_lshr_b32 s4, ttmp7, 16
	s_add_co_i32 s2, s2, 1
	s_bfe_u32 s5, ttmp6, 0x40008
	s_mul_i32 s2, s4, s2
	s_getreg_b32 s3, hwreg(HW_REG_IB_STS2, 6, 4)
	s_add_co_i32 s5, s5, s2
	s_cmp_eq_u32 s3, 0
	s_cselect_b32 s36, s4, s5
	s_wait_kmcnt 0x0
	s_cmp_ge_u32 s36, s33
	s_cbranch_scc1 .LBB26_24
; %bb.2:
	s_clause 0x1
	s_load_b512 s[4:19], s[0:1], 0x18
	s_load_b256 s[20:27], s[0:1], 0x58
	v_and_b32_e32 v24, 0x3ff, v0
	v_bfe_u32 v25, v0, 10, 10
	s_delay_alu instid0(VALU_DEP_1) | instskip(NEXT) | instid1(VALU_DEP_1)
	v_dual_lshlrev_b32 v26, 8, v24 :: v_dual_lshlrev_b32 v0, 3, v25
	v_or_b32_e32 v27, 0x2000, v0
	s_delay_alu instid0(VALU_DEP_1)
	v_dual_add_nc_u32 v28, v26, v0 :: v_dual_add_nc_u32 v29, v27, v26
	v_add_nc_u32_e32 v30, 0x800, v27
	s_wait_kmcnt 0x0
	s_lshl_b64 s[14:15], s[14:15], 3
	s_lshl_b64 s[38:39], s[6:7], 3
	s_bitcmp1_b32 s28, 0
	v_add_nc_u32_e32 v31, 0x1000, v27
	s_cselect_b32 s2, -1, 0
	s_add_co_i32 s6, s30, -1
	s_lshl_b64 s[40:41], s[22:23], 3
	s_bfe_u32 s22, ttmp6, 0x4000c
	s_bfe_u32 s28, ttmp6, 0x40010
	s_ashr_i32 s37, s6, 31
	s_and_b32 s23, ttmp7, 0xffff
	s_add_co_i32 s22, s22, 1
	s_add_co_i32 s28, s28, 1
	s_lshr_b32 s37, s37, 27
	s_and_b32 s7, ttmp6, 15
	s_bfe_u32 s34, ttmp6, 0x40004
	s_mul_i32 s22, ttmp9, s22
	s_mul_i32 s28, s23, s28
	s_add_co_i32 s6, s6, s37
	s_add_co_i32 s7, s7, s22
	;; [unrolled: 1-line block ×3, first 2 shown]
	s_ashr_i32 s22, s6, 5
	s_cmp_eq_u32 s3, 0
	v_add_nc_u32_e32 v32, 0x1800, v27
	s_cselect_b32 s3, ttmp9, s7
	s_cselect_b32 s23, s23, s28
	v_lshl_add_u32 v2, s3, 5, v24
	s_add_nc_u64 s[6:7], s[12:13], s[14:15]
	s_add_nc_u64 s[12:13], s[20:21], s[40:41]
	s_cmp_le_i32 s23, s22
	s_mov_b32 s34, s31
	v_ashrrev_i32_e32 v3, 31, v2
	v_cmp_gt_i32_e64 s3, s29, v2
	s_cselect_b32 s28, -1, 0
	s_cmp_gt_i32 s29, 0
	s_mov_b32 s37, 0
	v_mul_u64_e32 v[4:5], s[8:9], v[2:3]
	v_lshl_add_u64 v[0:1], v[2:3], 3, s[12:13]
	s_add_nc_u64 s[4:5], s[4:5], s[38:39]
	s_cselect_b32 s38, -1, 0
	s_add_nc_u64 s[12:13], s[0:1], 0x80
	s_mov_b32 s14, s35
	s_mov_b32 s15, s31
	s_delay_alu instid0(VALU_DEP_2)
	v_lshlrev_b64_e32 v[4:5], 3, v[4:5]
	s_branch .LBB26_4
.LBB26_3:                               ;   in Loop: Header=BB26_4 Depth=1
	s_add_co_i32 s36, s36, 0x10000
	s_delay_alu instid0(SALU_CYCLE_1)
	s_cmp_lt_u32 s36, s33
	s_cbranch_scc0 .LBB26_24
.LBB26_4:                               ; =>This Loop Header: Depth=1
                                        ;     Child Loop BB26_7 Depth 2
                                        ;       Child Loop BB26_10 Depth 3
	s_and_not1_b32 vcc_lo, exec_lo, s28
	s_cbranch_vccnz .LBB26_3
; %bb.5:                                ;   in Loop: Header=BB26_4 Depth=1
	s_load_b32 s31, s[12:13], 0x4
	s_mul_u64 s[0:1], s[10:11], s[36:37]
	s_mul_u64 s[40:41], s[26:27], s[36:37]
	s_lshl_b64 s[0:1], s[0:1], 3
	s_mul_u64 s[20:21], s[18:19], s[36:37]
	s_add_nc_u64 s[0:1], s[4:5], s[0:1]
	v_lshl_add_u64 v[12:13], s[40:41], 3, v[0:1]
	v_lshl_add_u64 v[6:7], v[2:3], 3, s[0:1]
	v_add_nc_u64_e32 v[8:9], s[0:1], v[4:5]
	s_lshl_b64 s[0:1], s[20:21], 3
	s_mov_b32 s39, s23
	s_add_nc_u64 s[20:21], s[6:7], s[0:1]
	v_add_nc_u64_e32 v[10:11], v[6:7], v[4:5]
	s_branch .LBB26_7
.LBB26_6:                               ;   in Loop: Header=BB26_7 Depth=2
	s_wait_kmcnt 0x0
	s_add_co_i32 s39, s39, s31
	s_delay_alu instid0(SALU_CYCLE_1)
	s_cmp_gt_i32 s39, s22
	s_cbranch_scc1 .LBB26_3
.LBB26_7:                               ;   Parent Loop BB26_4 Depth=1
                                        ; =>  This Loop Header: Depth=2
                                        ;       Child Loop BB26_10 Depth 3
	s_and_not1_b32 vcc_lo, exec_lo, s38
	s_cbranch_vccnz .LBB26_6
; %bb.8:                                ;   in Loop: Header=BB26_7 Depth=2
	v_lshl_add_u32 v14, s39, 5, v25
	s_mov_b32 s41, 0
	s_delay_alu instid0(VALU_DEP_1) | instskip(SKIP_1) | instid1(VALU_DEP_2)
	v_ashrrev_i32_e32 v15, 31, v14
	v_cmp_gt_i32_e32 vcc_lo, s30, v14
	v_mul_u64_e32 v[16:17], s[16:17], v[14:15]
	v_mul_u64_e32 v[18:19], s[24:25], v[14:15]
	s_and_b32 s40, s3, vcc_lo
	s_delay_alu instid0(VALU_DEP_2) | instskip(NEXT) | instid1(VALU_DEP_2)
	v_lshl_add_u64 v[14:15], v[16:17], 3, s[20:21]
	v_lshl_add_u64 v[16:17], v[18:19], 3, v[12:13]
	s_branch .LBB26_10
.LBB26_9:                               ;   in Loop: Header=BB26_10 Depth=3
	s_wait_xcnt 0x0
	s_or_b32 exec_lo, exec_lo, s0
	s_add_co_i32 s41, s41, 32
	s_wait_storecnt 0x0
	s_cmp_ge_i32 s41, s29
	s_barrier_signal -1
	s_barrier_wait -1
	s_cbranch_scc1 .LBB26_6
.LBB26_10:                              ;   Parent Loop BB26_4 Depth=1
                                        ;     Parent Loop BB26_7 Depth=2
                                        ; =>    This Inner Loop Header: Depth=3
	v_add_nc_u32_e32 v22, s41, v25
	s_mov_b32 s42, exec_lo
	s_delay_alu instid0(VALU_DEP_1) | instskip(SKIP_1) | instid1(VALU_DEP_1)
	v_cndmask_b32_e64 v19, v22, v2, s2
	v_cndmask_b32_e64 v21, v2, v22, s2
	v_cmp_gt_i32_e64 s0, v19, v21
	s_delay_alu instid0(VALU_DEP_1) | instskip(SKIP_2) | instid1(VALU_DEP_2)
	v_cndmask_b32_e64 v18, v2, v22, s0
	v_cndmask_b32_e64 v20, v22, v2, s0
	v_cmp_le_i32_e64 s0, v19, v21
	v_dual_mov_b32 v21, 0 :: v_dual_max_i32 v23, v18, v20
	v_dual_mov_b32 v18, 0 :: v_dual_mov_b32 v20, 0
	s_delay_alu instid0(VALU_DEP_2)
	v_cmpx_gt_i32_e64 s29, v23
	s_cbranch_execz .LBB26_20
; %bb.11:                               ;   in Loop: Header=BB26_10 Depth=3
                                        ; implicit-def: $vgpr21
	s_and_saveexec_b32 s1, s0
	s_delay_alu instid0(SALU_CYCLE_1)
	s_xor_b32 s1, exec_lo, s1
	s_cbranch_execz .LBB26_17
; %bb.12:                               ;   in Loop: Header=BB26_10 Depth=3
	v_cmp_ne_u32_e64 s0, v22, v2
                                        ; implicit-def: $vgpr21
	s_and_saveexec_b32 s43, s0
	s_delay_alu instid0(SALU_CYCLE_1)
	s_xor_b32 s0, exec_lo, s43
	s_cbranch_execz .LBB26_14
; %bb.13:                               ;   in Loop: Header=BB26_10 Depth=3
	v_ashrrev_i32_e32 v23, 31, v22
	s_delay_alu instid0(VALU_DEP_1) | instskip(NEXT) | instid1(VALU_DEP_1)
	v_mul_u64_e32 v[20:21], s[8:9], v[22:23]
	v_lshl_add_u64 v[20:21], v[20:21], 3, v[6:7]
	global_load_b64 v[20:21], v[20:21], off
.LBB26_14:                              ;   in Loop: Header=BB26_10 Depth=3
	s_wait_xcnt 0x0
	s_and_not1_saveexec_b32 s0, s0
	s_cbranch_execz .LBB26_16
; %bb.15:                               ;   in Loop: Header=BB26_10 Depth=3
	s_wait_loadcnt 0x0
	global_load_b32 v20, v[10:11], off
	v_mov_b32_e32 v21, 0
.LBB26_16:                              ;   in Loop: Header=BB26_10 Depth=3
	s_wait_xcnt 0x0
	s_or_b32 exec_lo, exec_lo, s0
                                        ; implicit-def: $vgpr22
.LBB26_17:                              ;   in Loop: Header=BB26_10 Depth=3
	s_and_not1_saveexec_b32 s0, s1
	s_cbranch_execz .LBB26_19
; %bb.18:                               ;   in Loop: Header=BB26_10 Depth=3
	v_ashrrev_i32_e32 v23, 31, v22
	s_wait_loadcnt 0x0
	s_delay_alu instid0(VALU_DEP_1)
	v_lshl_add_u64 v[20:21], v[22:23], 3, v[8:9]
	global_load_b64 v[20:21], v[20:21], off
	s_wait_loadcnt 0x0
	v_xor_b32_e32 v21, 0x80000000, v21
.LBB26_19:                              ;   in Loop: Header=BB26_10 Depth=3
	s_or_b32 exec_lo, exec_lo, s0
.LBB26_20:                              ;   in Loop: Header=BB26_10 Depth=3
	s_delay_alu instid0(SALU_CYCLE_1)
	s_or_b32 exec_lo, exec_lo, s42
	v_dual_mov_b32 v19, 0 :: v_dual_add_nc_u32 v22, s41, v24
	s_wait_loadcnt 0x0
	ds_store_b64 v28, v[20:21]
	v_cmp_gt_i32_e64 s0, s29, v22
	s_and_b32 s1, s0, vcc_lo
	s_delay_alu instid0(SALU_CYCLE_1)
	s_and_saveexec_b32 s0, s1
	s_cbranch_execz .LBB26_22
; %bb.21:                               ;   in Loop: Header=BB26_10 Depth=3
	v_ashrrev_i32_e32 v23, 31, v22
	s_delay_alu instid0(VALU_DEP_1)
	v_lshl_add_u64 v[18:19], v[22:23], 3, v[14:15]
	global_load_b64 v[18:19], v[18:19], off
.LBB26_22:                              ;   in Loop: Header=BB26_10 Depth=3
	s_wait_xcnt 0x0
	s_or_b32 exec_lo, exec_lo, s0
	s_wait_loadcnt 0x0
	ds_store_b64 v29, v[18:19]
	s_wait_dscnt 0x0
	s_barrier_signal -1
	s_barrier_wait -1
	s_and_saveexec_b32 s0, s40
	s_cbranch_execz .LBB26_9
; %bb.23:                               ;   in Loop: Header=BB26_10 Depth=3
	global_load_b64 v[18:19], v[16:17], off
	ds_load_2addr_b64 v[20:23], v27 offset1:32
	ds_load_b128 v[34:37], v26
	ds_load_b128 v[38:41], v26 offset:16
	ds_load_2addr_b64 v[42:45], v27 offset0:64 offset1:96
	ds_load_b128 v[46:49], v26 offset:32
	ds_load_2addr_b64 v[50:53], v27 offset0:128 offset1:160
	s_wait_dscnt 0x4
	v_dual_mul_f32 v33, v21, v35 :: v_dual_mul_f32 v35, v20, v35
	s_wait_dscnt 0x2
	v_dual_mul_f32 v54, v43, v39 :: v_dual_mul_f32 v39, v42, v39
	s_delay_alu instid0(VALU_DEP_2) | instskip(SKIP_1) | instid1(VALU_DEP_2)
	v_dual_fma_f32 v20, v20, v34, -v33 :: v_dual_fmac_f32 v35, v21, v34
	v_dual_mul_f32 v21, v23, v37 :: v_dual_mul_f32 v33, v22, v37
	v_dual_fmac_f32 v39, v43, v38 :: v_dual_add_f32 v34, 0, v20
	s_delay_alu instid0(VALU_DEP_2) | instskip(NEXT) | instid1(VALU_DEP_3)
	v_dual_add_f32 v35, 0, v35 :: v_dual_fma_f32 v37, v22, v36, -v21
	v_dual_fmac_f32 v33, v23, v36 :: v_dual_fma_f32 v36, v42, v38, -v54
	ds_load_b128 v[20:23], v26 offset:48
	v_dual_mul_f32 v38, v45, v41 :: v_dual_mul_f32 v41, v44, v41
	v_add_f32_e32 v34, v34, v37
	s_delay_alu instid0(VALU_DEP_2) | instskip(NEXT) | instid1(VALU_DEP_3)
	v_dual_add_f32 v33, v35, v33 :: v_dual_fma_f32 v38, v44, v40, -v38
	v_fmac_f32_e32 v41, v45, v40
	s_delay_alu instid0(VALU_DEP_2) | instskip(SKIP_4) | instid1(VALU_DEP_2)
	v_dual_add_f32 v42, v34, v36 :: v_dual_add_f32 v33, v33, v39
	ds_load_2addr_b64 v[34:37], v27 offset0:192 offset1:224
	s_wait_dscnt 0x2
	v_dual_mul_f32 v39, v51, v47 :: v_dual_mul_f32 v47, v50, v47
	v_dual_add_f32 v54, v42, v38 :: v_dual_add_f32 v33, v33, v41
	v_fma_f32 v50, v50, v46, -v39
	ds_load_b128 v[38:41], v26 offset:64
	ds_load_2addr_b64 v[42:45], v30 offset1:32
	v_dual_fmac_f32 v47, v51, v46 :: v_dual_mul_f32 v46, v53, v49
	v_dual_mul_f32 v49, v52, v49 :: v_dual_add_f32 v50, v54, v50
	s_delay_alu instid0(VALU_DEP_2) | instskip(NEXT) | instid1(VALU_DEP_1)
	v_dual_add_f32 v33, v33, v47 :: v_dual_fma_f32 v46, v52, v48, -v46
	v_dual_fmac_f32 v49, v53, v48 :: v_dual_add_f32 v54, v50, v46
	s_delay_alu instid0(VALU_DEP_1) | instskip(SKIP_2) | instid1(VALU_DEP_1)
	v_add_f32_e32 v33, v33, v49
	s_wait_dscnt 0x2
	v_dual_mul_f32 v47, v35, v21 :: v_dual_mul_f32 v21, v34, v21
	v_dual_fma_f32 v34, v34, v20, -v47 :: v_dual_fmac_f32 v21, v35, v20
	v_dual_mul_f32 v20, v37, v23 :: v_dual_mul_f32 v23, v36, v23
	ds_load_b128 v[46:49], v26 offset:80
	ds_load_2addr_b64 v[50:53], v30 offset0:64 offset1:96
	s_wait_dscnt 0x2
	v_dual_add_f32 v34, v54, v34 :: v_dual_mul_f32 v35, v43, v39
	v_dual_fma_f32 v20, v36, v22, -v20 :: v_dual_add_f32 v21, v33, v21
	v_dual_fmac_f32 v23, v37, v22 :: v_dual_mul_f32 v33, v42, v39
	s_delay_alu instid0(VALU_DEP_3) | instskip(NEXT) | instid1(VALU_DEP_2)
	v_fma_f32 v22, v42, v38, -v35
	v_dual_add_f32 v20, v34, v20 :: v_dual_add_f32 v39, v21, v23
	s_delay_alu instid0(VALU_DEP_3) | instskip(NEXT) | instid1(VALU_DEP_2)
	v_dual_fmac_f32 v33, v43, v38 :: v_dual_mul_f32 v38, v45, v41
	v_add_f32_e32 v42, v20, v22
	ds_load_b128 v[20:23], v26 offset:96
	ds_load_2addr_b64 v[34:37], v30 offset0:128 offset1:160
	v_dual_mul_f32 v41, v44, v41 :: v_dual_fma_f32 v38, v44, v40, -v38
	v_add_f32_e32 v33, v39, v33
	s_wait_dscnt 0x2
	s_delay_alu instid0(VALU_DEP_2) | instskip(NEXT) | instid1(VALU_DEP_3)
	v_dual_mul_f32 v43, v51, v47 :: v_dual_fmac_f32 v41, v45, v40
	v_add_f32_e32 v38, v42, v38
	s_delay_alu instid0(VALU_DEP_2) | instskip(SKIP_1) | instid1(VALU_DEP_2)
	v_dual_mul_f32 v47, v50, v47 :: v_dual_fma_f32 v39, v50, v46, -v43
	v_mul_f32_e32 v40, v53, v49
	v_dual_add_f32 v33, v33, v41 :: v_dual_fmac_f32 v47, v51, v46
	s_delay_alu instid0(VALU_DEP_3) | instskip(NEXT) | instid1(VALU_DEP_3)
	v_dual_mul_f32 v49, v52, v49 :: v_dual_add_f32 v46, v38, v39
	v_fma_f32 v50, v52, v48, -v40
	ds_load_b128 v[38:41], v26 offset:112
	ds_load_2addr_b64 v[42:45], v30 offset0:192 offset1:224
	s_wait_dscnt 0x2
	v_dual_add_f32 v33, v33, v47 :: v_dual_mul_f32 v51, v35, v21
	v_dual_fmac_f32 v49, v53, v48 :: v_dual_add_f32 v46, v46, v50
	s_delay_alu instid0(VALU_DEP_2) | instskip(NEXT) | instid1(VALU_DEP_1)
	v_dual_mul_f32 v21, v34, v21 :: v_dual_fma_f32 v34, v34, v20, -v51
	v_dual_add_f32 v33, v33, v49 :: v_dual_fmac_f32 v21, v35, v20
	s_delay_alu instid0(VALU_DEP_2) | instskip(SKIP_3) | instid1(VALU_DEP_1)
	v_dual_add_f32 v20, v46, v34 :: v_dual_mul_f32 v34, v37, v23
	ds_load_b128 v[46:49], v26 offset:128
	ds_load_2addr_b64 v[50:53], v31 offset1:32
	v_dual_mul_f32 v23, v36, v23 :: v_dual_add_f32 v21, v33, v21
	v_dual_fma_f32 v33, v36, v22, -v34 :: v_dual_fmac_f32 v23, v37, v22
	s_wait_dscnt 0x2
	v_dual_mul_f32 v22, v43, v39 :: v_dual_mul_f32 v39, v42, v39
	s_delay_alu instid0(VALU_DEP_2) | instskip(NEXT) | instid1(VALU_DEP_2)
	v_dual_add_f32 v33, v20, v33 :: v_dual_add_f32 v54, v21, v23
	v_dual_fma_f32 v42, v42, v38, -v22 :: v_dual_fmac_f32 v39, v43, v38
	v_dual_mul_f32 v38, v45, v41 :: v_dual_mul_f32 v41, v44, v41
	ds_load_b128 v[20:23], v26 offset:144
	ds_load_2addr_b64 v[34:37], v31 offset0:64 offset1:96
	v_dual_add_f32 v33, v33, v42 :: v_dual_add_f32 v39, v54, v39
	v_dual_fma_f32 v38, v44, v40, -v38 :: v_dual_fmac_f32 v41, v45, v40
	s_wait_dscnt 0x2
	v_dual_mul_f32 v40, v51, v47 :: v_dual_mul_f32 v47, v50, v47
	s_delay_alu instid0(VALU_DEP_2) | instskip(NEXT) | instid1(VALU_DEP_2)
	v_dual_add_f32 v33, v33, v38 :: v_dual_add_f32 v54, v39, v41
	v_dual_fma_f32 v50, v50, v46, -v40 :: v_dual_fmac_f32 v47, v51, v46
	ds_load_b128 v[38:41], v26 offset:160
	ds_load_2addr_b64 v[42:45], v31 offset0:128 offset1:160
	v_dual_mul_f32 v46, v53, v49 :: v_dual_mul_f32 v49, v52, v49
	v_dual_add_f32 v33, v33, v50 :: v_dual_add_f32 v47, v54, v47
	s_delay_alu instid0(VALU_DEP_2) | instskip(SKIP_2) | instid1(VALU_DEP_2)
	v_dual_fma_f32 v46, v52, v48, -v46 :: v_dual_fmac_f32 v49, v53, v48
	s_wait_dscnt 0x2
	v_dual_mul_f32 v50, v35, v21 :: v_dual_mul_f32 v21, v34, v21
	v_dual_add_f32 v33, v33, v46 :: v_dual_add_f32 v54, v47, v49
	s_delay_alu instid0(VALU_DEP_2)
	v_dual_fma_f32 v34, v34, v20, -v50 :: v_dual_fmac_f32 v21, v35, v20
	v_mul_f32_e32 v20, v37, v23
	ds_load_b128 v[46:49], v26 offset:176
	ds_load_2addr_b64 v[50:53], v31 offset0:192 offset1:224
	v_dual_mul_f32 v23, v36, v23 :: v_dual_add_f32 v33, v33, v34
	s_wait_dscnt 0x2
	v_dual_add_f32 v21, v54, v21 :: v_dual_mul_f32 v34, v43, v39
	s_delay_alu instid0(VALU_DEP_2) | instskip(NEXT) | instid1(VALU_DEP_1)
	v_dual_fma_f32 v20, v36, v22, -v20 :: v_dual_fmac_f32 v23, v37, v22
	v_dual_fma_f32 v22, v42, v38, -v34 :: v_dual_add_f32 v20, v33, v20
	v_dual_mul_f32 v33, v42, v39 :: v_dual_mul_f32 v34, v45, v41
	s_delay_alu instid0(VALU_DEP_3) | instskip(NEXT) | instid1(VALU_DEP_2)
	v_dual_add_f32 v39, v21, v23 :: v_dual_mul_f32 v41, v44, v41
	v_fmac_f32_e32 v33, v43, v38
	s_delay_alu instid0(VALU_DEP_4) | instskip(NEXT) | instid1(VALU_DEP_4)
	v_add_f32_e32 v38, v20, v22
	v_fma_f32 v42, v44, v40, -v34
	ds_load_b128 v[20:23], v26 offset:192
	ds_load_2addr_b64 v[34:37], v32 offset1:32
	s_wait_dscnt 0x2
	v_dual_mul_f32 v43, v51, v47 :: v_dual_fmac_f32 v41, v45, v40
	v_dual_add_f32 v33, v39, v33 :: v_dual_add_f32 v38, v38, v42
	s_delay_alu instid0(VALU_DEP_2) | instskip(SKIP_1) | instid1(VALU_DEP_2)
	v_dual_mul_f32 v47, v50, v47 :: v_dual_fma_f32 v39, v50, v46, -v43
	v_mul_f32_e32 v50, v53, v49
	v_dual_add_f32 v33, v33, v41 :: v_dual_fmac_f32 v47, v51, v46
	s_delay_alu instid0(VALU_DEP_3)
	v_dual_add_f32 v46, v38, v39 :: v_dual_mul_f32 v49, v52, v49
	ds_load_b128 v[38:41], v26 offset:208
	ds_load_2addr_b64 v[42:45], v32 offset0:64 offset1:96
	v_dual_add_f32 v33, v33, v47 :: v_dual_fma_f32 v47, v52, v48, -v50
	s_wait_dscnt 0x2
	v_dual_fmac_f32 v49, v53, v48 :: v_dual_mul_f32 v48, v35, v21
	v_mul_f32_e32 v21, v34, v21
	s_delay_alu instid0(VALU_DEP_2) | instskip(NEXT) | instid1(VALU_DEP_2)
	v_dual_add_f32 v54, v46, v47 :: v_dual_add_f32 v33, v33, v49
	v_dual_fma_f32 v34, v34, v20, -v48 :: v_dual_fmac_f32 v21, v35, v20
	v_dual_mul_f32 v20, v37, v23 :: v_dual_mul_f32 v23, v36, v23
	ds_load_b128 v[46:49], v26 offset:224
	ds_load_2addr_b64 v[50:53], v32 offset0:128 offset1:160
	v_dual_add_f32 v34, v54, v34 :: v_dual_add_f32 v21, v33, v21
	v_dual_fma_f32 v20, v36, v22, -v20 :: v_dual_fmac_f32 v23, v37, v22
	s_wait_dscnt 0x2
	v_dual_mul_f32 v33, v42, v39 :: v_dual_mul_f32 v39, v43, v39
	s_delay_alu instid0(VALU_DEP_2) | instskip(SKIP_4) | instid1(VALU_DEP_2)
	v_dual_add_f32 v54, v34, v20 :: v_dual_add_f32 v55, v21, v23
	ds_load_b128 v[20:23], v26 offset:240
	ds_load_2addr_b64 v[34:37], v32 offset0:192 offset1:224
	v_dual_fmac_f32 v33, v43, v38 :: v_dual_mul_f32 v43, v44, v41
	v_dual_fma_f32 v38, v42, v38, -v39 :: v_dual_mul_f32 v39, v45, v41
	v_dual_add_f32 v33, v55, v33 :: v_dual_fmac_f32 v43, v45, v40
	s_delay_alu instid0(VALU_DEP_2) | instskip(SKIP_2) | instid1(VALU_DEP_3)
	v_dual_add_f32 v38, v54, v38 :: v_dual_fma_f32 v39, v44, v40, -v39
	s_wait_dscnt 0x2
	v_dual_mul_f32 v41, v50, v47 :: v_dual_mul_f32 v40, v51, v47
	v_dual_add_f32 v33, v33, v43 :: v_dual_mul_f32 v42, v52, v49
	s_delay_alu instid0(VALU_DEP_2) | instskip(NEXT) | instid1(VALU_DEP_3)
	v_dual_add_f32 v38, v38, v39 :: v_dual_fmac_f32 v41, v51, v46
	v_dual_fma_f32 v39, v50, v46, -v40 :: v_dual_mul_f32 v40, v53, v49
	s_delay_alu instid0(VALU_DEP_3) | instskip(NEXT) | instid1(VALU_DEP_3)
	v_fmac_f32_e32 v42, v53, v48
	v_add_f32_e32 v33, v33, v41
	s_wait_dscnt 0x0
	v_mul_f32_e32 v41, v34, v21
	v_dual_add_f32 v38, v38, v39 :: v_dual_fma_f32 v39, v52, v48, -v40
	s_delay_alu instid0(VALU_DEP_3) | instskip(NEXT) | instid1(VALU_DEP_3)
	v_dual_mul_f32 v21, v35, v21 :: v_dual_add_f32 v33, v33, v42
	v_dual_fmac_f32 v41, v35, v20 :: v_dual_mul_f32 v35, v36, v23
	s_delay_alu instid0(VALU_DEP_3) | instskip(NEXT) | instid1(VALU_DEP_3)
	v_add_f32_e32 v38, v38, v39
	v_dual_fma_f32 v20, v34, v20, -v21 :: v_dual_mul_f32 v23, v37, v23
	s_delay_alu instid0(VALU_DEP_3) | instskip(NEXT) | instid1(VALU_DEP_2)
	v_add_f32_e32 v21, v33, v41
	v_dual_fmac_f32 v35, v37, v22 :: v_dual_add_f32 v33, v38, v20
	s_delay_alu instid0(VALU_DEP_3) | instskip(SKIP_1) | instid1(VALU_DEP_3)
	v_fma_f32 v34, v36, v22, -v23
	v_mov_b64_e32 v[22:23], s[14:15]
	v_add_f32_e32 v20, v21, v35
	s_delay_alu instid0(VALU_DEP_3) | instskip(NEXT) | instid1(VALU_DEP_2)
	v_add_f32_e32 v34, v33, v34
	v_pk_mul_f32 v[20:21], v[22:23], v[20:21] op_sel_hi:[1,0]
	v_mov_b64_e32 v[22:23], s[34:35]
	s_delay_alu instid0(VALU_DEP_1) | instskip(SKIP_1) | instid1(VALU_DEP_2)
	v_pk_fma_f32 v[36:37], v[22:23], v[34:35], v[20:21] op_sel_hi:[1,0,1]
	v_pk_fma_f32 v[20:21], v[22:23], v[34:35], v[20:21] neg_lo:[0,0,1] neg_hi:[0,0,1]
	v_mov_b32_e32 v21, v37
	s_wait_loadcnt 0x0
	s_delay_alu instid0(VALU_DEP_1)
	v_pk_add_f32 v[18:19], v[18:19], v[20:21]
	global_store_b64 v[16:17], v[18:19], off
	s_branch .LBB26_9
.LBB26_24:
	s_endpgm
	.section	.rodata,"a",@progbits
	.p2align	6, 0x0
	.amdhsa_kernel _ZL24rocblas_symm_hemm_kernelILb1ELb0ELi32E19rocblas_complex_numIfEPKS1_PS1_EvbiiT2_T3_lllS6_lllT4_llli
		.amdhsa_group_segment_fixed_size 16384
		.amdhsa_private_segment_fixed_size 0
		.amdhsa_kernarg_size 384
		.amdhsa_user_sgpr_count 2
		.amdhsa_user_sgpr_dispatch_ptr 0
		.amdhsa_user_sgpr_queue_ptr 0
		.amdhsa_user_sgpr_kernarg_segment_ptr 1
		.amdhsa_user_sgpr_dispatch_id 0
		.amdhsa_user_sgpr_kernarg_preload_length 0
		.amdhsa_user_sgpr_kernarg_preload_offset 0
		.amdhsa_user_sgpr_private_segment_size 0
		.amdhsa_wavefront_size32 1
		.amdhsa_uses_dynamic_stack 0
		.amdhsa_enable_private_segment 0
		.amdhsa_system_sgpr_workgroup_id_x 1
		.amdhsa_system_sgpr_workgroup_id_y 1
		.amdhsa_system_sgpr_workgroup_id_z 1
		.amdhsa_system_sgpr_workgroup_info 0
		.amdhsa_system_vgpr_workitem_id 1
		.amdhsa_next_free_vgpr 56
		.amdhsa_next_free_sgpr 44
		.amdhsa_named_barrier_count 0
		.amdhsa_reserve_vcc 1
		.amdhsa_float_round_mode_32 0
		.amdhsa_float_round_mode_16_64 0
		.amdhsa_float_denorm_mode_32 3
		.amdhsa_float_denorm_mode_16_64 3
		.amdhsa_fp16_overflow 0
		.amdhsa_memory_ordered 1
		.amdhsa_forward_progress 1
		.amdhsa_inst_pref_size 21
		.amdhsa_round_robin_scheduling 0
		.amdhsa_exception_fp_ieee_invalid_op 0
		.amdhsa_exception_fp_denorm_src 0
		.amdhsa_exception_fp_ieee_div_zero 0
		.amdhsa_exception_fp_ieee_overflow 0
		.amdhsa_exception_fp_ieee_underflow 0
		.amdhsa_exception_fp_ieee_inexact 0
		.amdhsa_exception_int_div_zero 0
	.end_amdhsa_kernel
	.section	.text._ZL24rocblas_symm_hemm_kernelILb1ELb0ELi32E19rocblas_complex_numIfEPKS1_PS1_EvbiiT2_T3_lllS6_lllT4_llli,"axG",@progbits,_ZL24rocblas_symm_hemm_kernelILb1ELb0ELi32E19rocblas_complex_numIfEPKS1_PS1_EvbiiT2_T3_lllS6_lllT4_llli,comdat
.Lfunc_end26:
	.size	_ZL24rocblas_symm_hemm_kernelILb1ELb0ELi32E19rocblas_complex_numIfEPKS1_PS1_EvbiiT2_T3_lllS6_lllT4_llli, .Lfunc_end26-_ZL24rocblas_symm_hemm_kernelILb1ELb0ELi32E19rocblas_complex_numIfEPKS1_PS1_EvbiiT2_T3_lllS6_lllT4_llli
                                        ; -- End function
	.set _ZL24rocblas_symm_hemm_kernelILb1ELb0ELi32E19rocblas_complex_numIfEPKS1_PS1_EvbiiT2_T3_lllS6_lllT4_llli.num_vgpr, 56
	.set _ZL24rocblas_symm_hemm_kernelILb1ELb0ELi32E19rocblas_complex_numIfEPKS1_PS1_EvbiiT2_T3_lllS6_lllT4_llli.num_agpr, 0
	.set _ZL24rocblas_symm_hemm_kernelILb1ELb0ELi32E19rocblas_complex_numIfEPKS1_PS1_EvbiiT2_T3_lllS6_lllT4_llli.numbered_sgpr, 44
	.set _ZL24rocblas_symm_hemm_kernelILb1ELb0ELi32E19rocblas_complex_numIfEPKS1_PS1_EvbiiT2_T3_lllS6_lllT4_llli.num_named_barrier, 0
	.set _ZL24rocblas_symm_hemm_kernelILb1ELb0ELi32E19rocblas_complex_numIfEPKS1_PS1_EvbiiT2_T3_lllS6_lllT4_llli.private_seg_size, 0
	.set _ZL24rocblas_symm_hemm_kernelILb1ELb0ELi32E19rocblas_complex_numIfEPKS1_PS1_EvbiiT2_T3_lllS6_lllT4_llli.uses_vcc, 1
	.set _ZL24rocblas_symm_hemm_kernelILb1ELb0ELi32E19rocblas_complex_numIfEPKS1_PS1_EvbiiT2_T3_lllS6_lllT4_llli.uses_flat_scratch, 0
	.set _ZL24rocblas_symm_hemm_kernelILb1ELb0ELi32E19rocblas_complex_numIfEPKS1_PS1_EvbiiT2_T3_lllS6_lllT4_llli.has_dyn_sized_stack, 0
	.set _ZL24rocblas_symm_hemm_kernelILb1ELb0ELi32E19rocblas_complex_numIfEPKS1_PS1_EvbiiT2_T3_lllS6_lllT4_llli.has_recursion, 0
	.set _ZL24rocblas_symm_hemm_kernelILb1ELb0ELi32E19rocblas_complex_numIfEPKS1_PS1_EvbiiT2_T3_lllS6_lllT4_llli.has_indirect_call, 0
	.section	.AMDGPU.csdata,"",@progbits
; Kernel info:
; codeLenInByte = 2564
; TotalNumSgprs: 46
; NumVgprs: 56
; ScratchSize: 0
; MemoryBound: 0
; FloatMode: 240
; IeeeMode: 1
; LDSByteSize: 16384 bytes/workgroup (compile time only)
; SGPRBlocks: 0
; VGPRBlocks: 3
; NumSGPRsForWavesPerEU: 46
; NumVGPRsForWavesPerEU: 56
; NamedBarCnt: 0
; Occupancy: 16
; WaveLimiterHint : 0
; COMPUTE_PGM_RSRC2:SCRATCH_EN: 0
; COMPUTE_PGM_RSRC2:USER_SGPR: 2
; COMPUTE_PGM_RSRC2:TRAP_HANDLER: 0
; COMPUTE_PGM_RSRC2:TGID_X_EN: 1
; COMPUTE_PGM_RSRC2:TGID_Y_EN: 1
; COMPUTE_PGM_RSRC2:TGID_Z_EN: 1
; COMPUTE_PGM_RSRC2:TIDIG_COMP_CNT: 1
	.section	.text._ZL24rocblas_symm_hemm_kernelILb1ELb1ELi32E19rocblas_complex_numIfEPKS1_PS1_EvbiiT2_T3_lllS6_lllT4_llli,"axG",@progbits,_ZL24rocblas_symm_hemm_kernelILb1ELb1ELi32E19rocblas_complex_numIfEPKS1_PS1_EvbiiT2_T3_lllS6_lllT4_llli,comdat
	.globl	_ZL24rocblas_symm_hemm_kernelILb1ELb1ELi32E19rocblas_complex_numIfEPKS1_PS1_EvbiiT2_T3_lllS6_lllT4_llli ; -- Begin function _ZL24rocblas_symm_hemm_kernelILb1ELb1ELi32E19rocblas_complex_numIfEPKS1_PS1_EvbiiT2_T3_lllS6_lllT4_llli
	.p2align	8
	.type	_ZL24rocblas_symm_hemm_kernelILb1ELb1ELi32E19rocblas_complex_numIfEPKS1_PS1_EvbiiT2_T3_lllS6_lllT4_llli,@function
_ZL24rocblas_symm_hemm_kernelILb1ELb1ELi32E19rocblas_complex_numIfEPKS1_PS1_EvbiiT2_T3_lllS6_lllT4_llli: ; @_ZL24rocblas_symm_hemm_kernelILb1ELb1ELi32E19rocblas_complex_numIfEPKS1_PS1_EvbiiT2_T3_lllS6_lllT4_llli
; %bb.0:
	s_clause 0x1
	s_load_b128 s[28:31], s[0:1], 0x0
	s_load_b32 s35, s[0:1], 0x10
	s_wait_kmcnt 0x0
	s_cmp_eq_f32 s31, 0
	s_cselect_b32 s2, -1, 0
	s_cmp_eq_f32 s35, 0
	s_cselect_b32 s3, -1, 0
	s_delay_alu instid0(SALU_CYCLE_1) | instskip(NEXT) | instid1(SALU_CYCLE_1)
	s_and_b32 s2, s2, s3
	s_and_b32 vcc_lo, exec_lo, s2
	s_cbranch_vccnz .LBB27_24
; %bb.1:
	s_load_b32 s33, s[0:1], 0x78
	s_bfe_u32 s2, ttmp6, 0x40014
	s_lshr_b32 s4, ttmp7, 16
	s_add_co_i32 s2, s2, 1
	s_bfe_u32 s5, ttmp6, 0x40008
	s_mul_i32 s2, s4, s2
	s_getreg_b32 s3, hwreg(HW_REG_IB_STS2, 6, 4)
	s_add_co_i32 s5, s5, s2
	s_cmp_eq_u32 s3, 0
	s_cselect_b32 s36, s4, s5
	s_wait_kmcnt 0x0
	s_cmp_ge_u32 s36, s33
	s_cbranch_scc1 .LBB27_24
; %bb.2:
	s_clause 0x1
	s_load_b512 s[4:19], s[0:1], 0x18
	s_load_b256 s[20:27], s[0:1], 0x58
	v_bfe_u32 v24, v0, 10, 10
	v_and_b32_e32 v25, 0x3ff, v0
	s_mov_b32 s34, s31
	s_delay_alu instid0(VALU_DEP_1) | instskip(NEXT) | instid1(VALU_DEP_1)
	v_dual_lshlrev_b32 v0, 3, v24 :: v_dual_lshlrev_b32 v26, 8, v25
	v_or_b32_e32 v27, 0x2000, v0
	s_delay_alu instid0(VALU_DEP_1)
	v_dual_add_nc_u32 v28, v26, v0 :: v_dual_add_nc_u32 v29, v27, v26
	v_add_nc_u32_e32 v31, 0x800, v27
	v_add_nc_u32_e32 v32, 0x1000, v27
	s_wait_kmcnt 0x0
	s_lshl_b64 s[6:7], s[6:7], 3
	s_bitcmp1_b32 s28, 0
	s_add_nc_u64 s[4:5], s[4:5], s[6:7]
	s_cselect_b32 s2, -1, 0
	s_lshl_b64 s[38:39], s[22:23], 3
	s_add_co_i32 s22, s30, -1
	s_bfe_u32 s28, ttmp6, 0x4000c
	s_bfe_u32 s37, ttmp6, 0x40010
	s_ashr_i32 s42, s22, 31
	s_and_b32 s40, ttmp7, 0xffff
	s_add_co_i32 s28, s28, 1
	s_add_co_i32 s37, s37, 1
	s_lshr_b32 s42, s42, 27
	s_and_b32 s23, ttmp6, 15
	s_bfe_u32 s41, ttmp6, 0x40004
	s_mul_i32 s28, ttmp9, s28
	s_mul_i32 s37, s40, s37
	s_add_co_i32 s22, s22, s42
	s_lshl_b64 s[14:15], s[14:15], 3
	s_add_co_i32 s23, s23, s28
	s_add_co_i32 s41, s41, s37
	s_ashr_i32 s22, s22, 5
	s_cmp_eq_u32 s3, 0
	s_add_nc_u64 s[6:7], s[12:13], s[14:15]
	s_cselect_b32 s3, ttmp9, s23
	s_cselect_b32 s23, s40, s41
	v_lshl_add_u32 v0, s3, 5, v25
	v_lshl_add_u32 v4, s23, 5, v24
	s_add_nc_u64 s[12:13], s[20:21], s[38:39]
	s_cmp_le_i32 s23, s22
	v_add_nc_u32_e32 v33, 0x1800, v27
	v_ashrrev_i32_e32 v1, 31, v0
	v_cmp_gt_i32_e64 s3, s29, v0
	v_sub_nc_u32_e32 v30, 0, v4
	s_cselect_b32 s20, -1, 0
	s_cmp_gt_i32 s30, 0
	v_lshlrev_b64_e32 v[2:3], 3, v[0:1]
	s_mov_b32 s37, 0
	s_cselect_b32 s21, -1, 0
	s_delay_alu instid0(VALU_DEP_1)
	v_add_nc_u64_e32 v[0:1], s[6:7], v[2:3]
	v_add_nc_u64_e32 v[2:3], s[12:13], v[2:3]
	s_add_nc_u64 s[6:7], s[0:1], 0x80
	s_mov_b32 s12, s35
	s_mov_b32 s13, s31
	s_branch .LBB27_4
.LBB27_3:                               ;   in Loop: Header=BB27_4 Depth=1
	s_add_co_i32 s36, s36, 0x10000
	s_delay_alu instid0(SALU_CYCLE_1)
	s_cmp_lt_u32 s36, s33
	s_cbranch_scc0 .LBB27_24
.LBB27_4:                               ; =>This Loop Header: Depth=1
                                        ;     Child Loop BB27_7 Depth 2
                                        ;       Child Loop BB27_10 Depth 3
	s_and_not1_b32 vcc_lo, exec_lo, s20
	s_cbranch_vccnz .LBB27_3
; %bb.5:                                ;   in Loop: Header=BB27_4 Depth=1
	s_load_b32 s1, s[6:7], 0x4
	s_mul_u64 s[28:29], s[26:27], s[36:37]
	s_mul_u64 s[38:39], s[18:19], s[36:37]
	;; [unrolled: 1-line block ×3, first 2 shown]
	v_mov_b32_e32 v34, v30
	v_lshl_add_u64 v[4:5], s[38:39], 3, v[0:1]
	v_lshl_add_u64 v[6:7], s[28:29], 3, v[2:3]
	s_lshl_b64 s[14:15], s[14:15], 3
	s_mov_b32 s29, s23
	s_add_nc_u64 s[14:15], s[4:5], s[14:15]
	s_wait_kmcnt 0x0
	s_lshl_b32 s28, s1, 5
	s_branch .LBB27_7
.LBB27_6:                               ;   in Loop: Header=BB27_7 Depth=2
	v_subrev_nc_u32_e32 v34, s28, v34
	s_add_co_i32 s29, s29, s1
	s_delay_alu instid0(SALU_CYCLE_1)
	s_cmp_gt_i32 s29, s22
	s_cbranch_scc1 .LBB27_3
.LBB27_7:                               ;   Parent Loop BB27_4 Depth=1
                                        ; =>  This Loop Header: Depth=2
                                        ;       Child Loop BB27_10 Depth 3
	s_and_not1_b32 vcc_lo, exec_lo, s21
	s_cbranch_vccnz .LBB27_6
; %bb.8:                                ;   in Loop: Header=BB27_7 Depth=2
	v_lshl_add_u32 v8, s29, 5, v24
	s_mov_b32 s38, 0
	s_delay_alu instid0(VALU_DEP_1) | instskip(SKIP_1) | instid1(VALU_DEP_2)
	v_ashrrev_i32_e32 v9, 31, v8
	v_cmp_gt_i32_e32 vcc_lo, s30, v8
	v_mul_u64_e32 v[10:11], s[8:9], v[8:9]
	v_mul_u64_e32 v[16:17], s[24:25], v[8:9]
	v_lshlrev_b64_e32 v[14:15], 3, v[8:9]
	v_add_nc_u32_e32 v9, v25, v34
	s_and_b32 s31, s3, vcc_lo
	s_delay_alu instid0(VALU_DEP_2) | instskip(SKIP_2) | instid1(VALU_DEP_2)
	v_add_nc_u64_e32 v[12:13], s[14:15], v[14:15]
	v_lshl_add_u64 v[10:11], v[10:11], 3, s[14:15]
	v_lshl_add_u64 v[16:17], v[16:17], 3, v[6:7]
	v_add_nc_u64_e32 v[14:15], v[10:11], v[14:15]
	s_branch .LBB27_10
.LBB27_9:                               ;   in Loop: Header=BB27_10 Depth=3
	s_wait_xcnt 0x0
	s_or_b32 exec_lo, exec_lo, s0
	s_add_co_i32 s38, s38, 32
	s_wait_storecnt 0x0
	s_cmp_ge_i32 s38, s30
	s_barrier_signal -1
	s_barrier_wait -1
	s_cbranch_scc1 .LBB27_6
.LBB27_10:                              ;   Parent Loop BB27_4 Depth=1
                                        ;     Parent Loop BB27_7 Depth=2
                                        ; =>    This Inner Loop Header: Depth=3
	v_dual_add_nc_u32 v20, s38, v24 :: v_dual_mov_b32 v18, 0
	v_dual_mov_b32 v22, 0 :: v_dual_mov_b32 v23, 0
	s_delay_alu instid0(VALU_DEP_2) | instskip(SKIP_1) | instid1(SALU_CYCLE_1)
	v_cmp_gt_i32_e32 vcc_lo, s30, v20
	s_and_b32 s39, s3, vcc_lo
	s_and_saveexec_b32 s0, s39
	s_cbranch_execz .LBB27_12
; %bb.11:                               ;   in Loop: Header=BB27_10 Depth=3
	v_ashrrev_i32_e32 v21, 31, v20
	s_delay_alu instid0(VALU_DEP_1) | instskip(NEXT) | instid1(VALU_DEP_1)
	v_mul_u64_e32 v[20:21], s[16:17], v[20:21]
	v_lshl_add_u64 v[20:21], v[20:21], 3, v[4:5]
	global_load_b64 v[22:23], v[20:21], off
.LBB27_12:                              ;   in Loop: Header=BB27_10 Depth=3
	s_wait_xcnt 0x0
	s_or_b32 exec_lo, exec_lo, s0
	v_add_nc_u32_e32 v20, s38, v25
	s_mov_b32 s39, exec_lo
	s_wait_loadcnt 0x0
	ds_store_b64 v28, v[22:23]
	v_cndmask_b32_e64 v19, v8, v20, s2
	v_cndmask_b32_e64 v21, v20, v8, s2
	s_delay_alu instid0(VALU_DEP_1) | instskip(SKIP_3) | instid1(VALU_DEP_2)
	v_cmp_gt_i32_e32 vcc_lo, v19, v21
	v_cndmask_b32_e32 v35, v20, v8, vcc_lo
	v_cndmask_b32_e32 v36, v8, v20, vcc_lo
	v_cmp_le_i32_e32 vcc_lo, v19, v21
	v_dual_mov_b32 v19, 0 :: v_dual_max_i32 v35, v35, v36
	s_delay_alu instid0(VALU_DEP_1)
	v_cmpx_gt_i32_e64 s30, v35
	s_cbranch_execz .LBB27_22
; %bb.13:                               ;   in Loop: Header=BB27_10 Depth=3
                                        ; implicit-def: $vgpr19
	s_and_saveexec_b32 s0, vcc_lo
	s_delay_alu instid0(SALU_CYCLE_1)
	s_xor_b32 s0, exec_lo, s0
	s_cbranch_execz .LBB27_19
; %bb.14:                               ;   in Loop: Header=BB27_10 Depth=3
	v_add_nc_u32_e32 v18, s38, v9
	s_delay_alu instid0(VALU_DEP_1) | instskip(SKIP_1) | instid1(SALU_CYCLE_1)
	v_cmp_ne_u32_e32 vcc_lo, 0, v18
                                        ; implicit-def: $vgpr19
	s_and_saveexec_b32 s40, vcc_lo
	s_xor_b32 s40, exec_lo, s40
	s_cbranch_execz .LBB27_16
; %bb.15:                               ;   in Loop: Header=BB27_10 Depth=3
	v_ashrrev_i32_e32 v21, 31, v20
	s_delay_alu instid0(VALU_DEP_1)
	v_lshl_add_u64 v[18:19], v[20:21], 3, v[10:11]
	global_load_b64 v[18:19], v[18:19], off
.LBB27_16:                              ;   in Loop: Header=BB27_10 Depth=3
	s_wait_xcnt 0x0
	s_and_not1_saveexec_b32 s40, s40
	s_cbranch_execz .LBB27_18
; %bb.17:                               ;   in Loop: Header=BB27_10 Depth=3
	s_wait_loadcnt 0x0
	global_load_b32 v18, v[14:15], off
	v_mov_b32_e32 v19, 0
.LBB27_18:                              ;   in Loop: Header=BB27_10 Depth=3
	s_wait_xcnt 0x0
	s_or_b32 exec_lo, exec_lo, s40
                                        ; implicit-def: $vgpr20
.LBB27_19:                              ;   in Loop: Header=BB27_10 Depth=3
	s_and_not1_saveexec_b32 s0, s0
	s_cbranch_execz .LBB27_21
; %bb.20:                               ;   in Loop: Header=BB27_10 Depth=3
	v_ashrrev_i32_e32 v21, 31, v20
	s_wait_loadcnt 0x0
	s_delay_alu instid0(VALU_DEP_1) | instskip(NEXT) | instid1(VALU_DEP_1)
	v_mul_u64_e32 v[18:19], s[8:9], v[20:21]
	v_lshl_add_u64 v[18:19], v[18:19], 3, v[12:13]
	global_load_b64 v[18:19], v[18:19], off
	s_wait_loadcnt 0x0
	v_xor_b32_e32 v19, 0x80000000, v19
.LBB27_21:                              ;   in Loop: Header=BB27_10 Depth=3
	s_or_b32 exec_lo, exec_lo, s0
.LBB27_22:                              ;   in Loop: Header=BB27_10 Depth=3
	s_delay_alu instid0(SALU_CYCLE_1)
	s_or_b32 exec_lo, exec_lo, s39
	s_wait_loadcnt 0x0
	ds_store_b64 v29, v[18:19]
	s_wait_dscnt 0x0
	s_barrier_signal -1
	s_barrier_wait -1
	s_and_saveexec_b32 s0, s31
	s_cbranch_execz .LBB27_9
; %bb.23:                               ;   in Loop: Header=BB27_10 Depth=3
	global_load_b64 v[18:19], v[16:17], off
	ds_load_2addr_b64 v[20:23], v27 offset1:32
	ds_load_b128 v[36:39], v26
	ds_load_b128 v[40:43], v26 offset:16
	ds_load_2addr_b64 v[44:47], v27 offset0:64 offset1:96
	ds_load_b128 v[48:51], v26 offset:32
	ds_load_2addr_b64 v[52:55], v27 offset0:128 offset1:160
	s_wait_dscnt 0x4
	v_dual_mul_f32 v35, v21, v37 :: v_dual_mul_f32 v37, v20, v37
	s_wait_dscnt 0x2
	v_dual_mul_f32 v56, v45, v41 :: v_dual_mul_f32 v41, v44, v41
	s_delay_alu instid0(VALU_DEP_2) | instskip(SKIP_1) | instid1(VALU_DEP_3)
	v_dual_fma_f32 v20, v20, v36, -v35 :: v_dual_fmac_f32 v37, v21, v36
	v_dual_mul_f32 v21, v23, v39 :: v_dual_mul_f32 v35, v22, v39
	v_fmac_f32_e32 v41, v45, v40
	s_delay_alu instid0(VALU_DEP_3) | instskip(NEXT) | instid1(VALU_DEP_3)
	v_dual_add_f32 v36, 0, v20 :: v_dual_add_f32 v37, 0, v37
	v_dual_fma_f32 v39, v22, v38, -v21 :: v_dual_fmac_f32 v35, v23, v38
	v_fma_f32 v38, v44, v40, -v56
	ds_load_b128 v[20:23], v26 offset:48
	v_dual_mul_f32 v40, v47, v43 :: v_dual_mul_f32 v43, v46, v43
	v_add_f32_e32 v36, v36, v39
	s_delay_alu instid0(VALU_DEP_2) | instskip(NEXT) | instid1(VALU_DEP_3)
	v_dual_add_f32 v35, v37, v35 :: v_dual_fma_f32 v40, v46, v42, -v40
	v_fmac_f32_e32 v43, v47, v42
	s_delay_alu instid0(VALU_DEP_2) | instskip(SKIP_4) | instid1(VALU_DEP_2)
	v_dual_add_f32 v44, v36, v38 :: v_dual_add_f32 v35, v35, v41
	ds_load_2addr_b64 v[36:39], v27 offset0:192 offset1:224
	s_wait_dscnt 0x2
	v_dual_mul_f32 v41, v53, v49 :: v_dual_mul_f32 v49, v52, v49
	v_dual_add_f32 v56, v44, v40 :: v_dual_add_f32 v35, v35, v43
	v_fma_f32 v52, v52, v48, -v41
	ds_load_b128 v[40:43], v26 offset:64
	ds_load_2addr_b64 v[44:47], v31 offset1:32
	v_dual_fmac_f32 v49, v53, v48 :: v_dual_mul_f32 v48, v55, v51
	v_dual_mul_f32 v51, v54, v51 :: v_dual_add_f32 v52, v56, v52
	s_delay_alu instid0(VALU_DEP_2) | instskip(NEXT) | instid1(VALU_DEP_1)
	v_dual_add_f32 v35, v35, v49 :: v_dual_fma_f32 v48, v54, v50, -v48
	v_dual_fmac_f32 v51, v55, v50 :: v_dual_add_f32 v56, v52, v48
	s_wait_dscnt 0x2
	s_delay_alu instid0(VALU_DEP_1) | instskip(NEXT) | instid1(VALU_DEP_1)
	v_dual_add_f32 v35, v35, v51 :: v_dual_mul_f32 v49, v37, v21
	v_dual_mul_f32 v21, v36, v21 :: v_dual_fma_f32 v36, v36, v20, -v49
	s_delay_alu instid0(VALU_DEP_1)
	v_dual_fmac_f32 v21, v37, v20 :: v_dual_mul_f32 v20, v39, v23
	ds_load_b128 v[48:51], v26 offset:80
	ds_load_2addr_b64 v[52:55], v31 offset0:64 offset1:96
	v_dual_mul_f32 v23, v38, v23 :: v_dual_add_f32 v36, v56, v36
	s_wait_dscnt 0x2
	v_dual_mul_f32 v37, v45, v41 :: v_dual_fma_f32 v20, v38, v22, -v20
	v_add_f32_e32 v21, v35, v21
	s_delay_alu instid0(VALU_DEP_3) | instskip(NEXT) | instid1(VALU_DEP_3)
	v_dual_fmac_f32 v23, v39, v22 :: v_dual_mul_f32 v35, v44, v41
	v_fma_f32 v22, v44, v40, -v37
	s_delay_alu instid0(VALU_DEP_2) | instskip(NEXT) | instid1(VALU_DEP_3)
	v_dual_add_f32 v20, v36, v20 :: v_dual_add_f32 v41, v21, v23
	v_dual_fmac_f32 v35, v45, v40 :: v_dual_mul_f32 v40, v47, v43
	s_delay_alu instid0(VALU_DEP_2)
	v_add_f32_e32 v44, v20, v22
	ds_load_b128 v[20:23], v26 offset:96
	ds_load_2addr_b64 v[36:39], v31 offset0:128 offset1:160
	v_dual_mul_f32 v43, v46, v43 :: v_dual_fma_f32 v40, v46, v42, -v40
	v_add_f32_e32 v35, v41, v35
	s_wait_dscnt 0x2
	s_delay_alu instid0(VALU_DEP_2) | instskip(SKIP_2) | instid1(VALU_DEP_3)
	v_dual_mul_f32 v45, v53, v49 :: v_dual_fmac_f32 v43, v47, v42
	v_mul_f32_e32 v49, v52, v49
	v_add_f32_e32 v40, v44, v40
	v_dual_fma_f32 v41, v52, v48, -v45 :: v_dual_mul_f32 v42, v55, v51
	s_delay_alu instid0(VALU_DEP_3) | instskip(NEXT) | instid1(VALU_DEP_2)
	v_dual_fmac_f32 v49, v53, v48 :: v_dual_add_f32 v35, v35, v43
	v_dual_mul_f32 v51, v54, v51 :: v_dual_add_f32 v48, v40, v41
	s_delay_alu instid0(VALU_DEP_3)
	v_fma_f32 v52, v54, v50, -v42
	ds_load_b128 v[40:43], v26 offset:112
	ds_load_2addr_b64 v[44:47], v31 offset0:192 offset1:224
	v_add_f32_e32 v35, v35, v49
	s_wait_dscnt 0x2
	v_dual_fmac_f32 v51, v55, v50 :: v_dual_mul_f32 v53, v37, v21
	v_add_f32_e32 v48, v48, v52
	s_delay_alu instid0(VALU_DEP_2) | instskip(NEXT) | instid1(VALU_DEP_1)
	v_dual_mul_f32 v21, v36, v21 :: v_dual_fma_f32 v36, v36, v20, -v53
	v_dual_add_f32 v35, v35, v51 :: v_dual_fmac_f32 v21, v37, v20
	s_delay_alu instid0(VALU_DEP_2) | instskip(SKIP_3) | instid1(VALU_DEP_1)
	v_dual_add_f32 v20, v48, v36 :: v_dual_mul_f32 v36, v39, v23
	ds_load_b128 v[48:51], v26 offset:128
	ds_load_2addr_b64 v[52:55], v32 offset1:32
	v_dual_mul_f32 v23, v38, v23 :: v_dual_add_f32 v21, v35, v21
	v_dual_fma_f32 v35, v38, v22, -v36 :: v_dual_fmac_f32 v23, v39, v22
	s_wait_dscnt 0x2
	v_dual_mul_f32 v22, v45, v41 :: v_dual_mul_f32 v41, v44, v41
	s_delay_alu instid0(VALU_DEP_2) | instskip(NEXT) | instid1(VALU_DEP_2)
	v_add_f32_e32 v35, v20, v35
	v_dual_add_f32 v56, v21, v23 :: v_dual_fma_f32 v44, v44, v40, -v22
	s_delay_alu instid0(VALU_DEP_3)
	v_dual_fmac_f32 v41, v45, v40 :: v_dual_mul_f32 v40, v47, v43
	v_mul_f32_e32 v43, v46, v43
	ds_load_b128 v[20:23], v26 offset:144
	ds_load_2addr_b64 v[36:39], v32 offset0:64 offset1:96
	v_dual_add_f32 v35, v35, v44 :: v_dual_add_f32 v41, v56, v41
	v_dual_fma_f32 v40, v46, v42, -v40 :: v_dual_fmac_f32 v43, v47, v42
	s_wait_dscnt 0x2
	v_dual_mul_f32 v42, v53, v49 :: v_dual_mul_f32 v49, v52, v49
	s_delay_alu instid0(VALU_DEP_2) | instskip(NEXT) | instid1(VALU_DEP_2)
	v_dual_add_f32 v35, v35, v40 :: v_dual_add_f32 v56, v41, v43
	v_dual_fma_f32 v52, v52, v48, -v42 :: v_dual_fmac_f32 v49, v53, v48
	ds_load_b128 v[40:43], v26 offset:160
	ds_load_2addr_b64 v[44:47], v32 offset0:128 offset1:160
	v_dual_mul_f32 v48, v55, v51 :: v_dual_mul_f32 v51, v54, v51
	s_delay_alu instid0(VALU_DEP_1) | instskip(SKIP_2) | instid1(VALU_DEP_3)
	v_dual_add_f32 v35, v35, v52 :: v_dual_fma_f32 v48, v54, v50, -v48
	v_add_f32_e32 v49, v56, v49
	s_wait_dscnt 0x2
	v_dual_mul_f32 v52, v37, v21 :: v_dual_fmac_f32 v51, v55, v50
	s_delay_alu instid0(VALU_DEP_3) | instskip(NEXT) | instid1(VALU_DEP_2)
	v_dual_mul_f32 v21, v36, v21 :: v_dual_add_f32 v35, v35, v48
	v_dual_fma_f32 v36, v36, v20, -v52 :: v_dual_add_f32 v56, v49, v51
	s_delay_alu instid0(VALU_DEP_2)
	v_dual_fmac_f32 v21, v37, v20 :: v_dual_mul_f32 v20, v39, v23
	ds_load_b128 v[48:51], v26 offset:176
	ds_load_2addr_b64 v[52:55], v32 offset0:192 offset1:224
	v_dual_add_f32 v35, v35, v36 :: v_dual_mul_f32 v23, v38, v23
	s_wait_dscnt 0x2
	v_dual_fma_f32 v20, v38, v22, -v20 :: v_dual_mul_f32 v36, v45, v41
	s_delay_alu instid0(VALU_DEP_2) | instskip(NEXT) | instid1(VALU_DEP_2)
	v_dual_add_f32 v21, v56, v21 :: v_dual_fmac_f32 v23, v39, v22
	v_dual_add_f32 v20, v35, v20 :: v_dual_mul_f32 v35, v44, v41
	s_delay_alu instid0(VALU_DEP_3) | instskip(NEXT) | instid1(VALU_DEP_3)
	v_dual_fma_f32 v22, v44, v40, -v36 :: v_dual_mul_f32 v36, v47, v43
	v_add_f32_e32 v41, v21, v23
	s_delay_alu instid0(VALU_DEP_3) | instskip(NEXT) | instid1(VALU_DEP_3)
	v_dual_mul_f32 v43, v46, v43 :: v_dual_fmac_f32 v35, v45, v40
	v_add_f32_e32 v40, v20, v22
	s_delay_alu instid0(VALU_DEP_4)
	v_fma_f32 v44, v46, v42, -v36
	ds_load_b128 v[20:23], v26 offset:192
	ds_load_2addr_b64 v[36:39], v33 offset1:32
	s_wait_dscnt 0x2
	v_dual_fmac_f32 v43, v47, v42 :: v_dual_mul_f32 v45, v53, v49
	v_dual_add_f32 v35, v41, v35 :: v_dual_add_f32 v40, v40, v44
	s_delay_alu instid0(VALU_DEP_2) | instskip(NEXT) | instid1(VALU_DEP_2)
	v_dual_mul_f32 v49, v52, v49 :: v_dual_fma_f32 v41, v52, v48, -v45
	v_add_f32_e32 v35, v35, v43
	s_delay_alu instid0(VALU_DEP_2) | instskip(NEXT) | instid1(VALU_DEP_3)
	v_dual_mul_f32 v52, v55, v51 :: v_dual_fmac_f32 v49, v53, v48
	v_dual_mul_f32 v51, v54, v51 :: v_dual_add_f32 v48, v40, v41
	ds_load_b128 v[40:43], v26 offset:208
	ds_load_2addr_b64 v[44:47], v33 offset0:64 offset1:96
	v_dual_add_f32 v35, v35, v49 :: v_dual_fma_f32 v49, v54, v50, -v52
	s_wait_dscnt 0x2
	v_dual_fmac_f32 v51, v55, v50 :: v_dual_mul_f32 v50, v37, v21
	v_mul_f32_e32 v21, v36, v21
	s_delay_alu instid0(VALU_DEP_2) | instskip(NEXT) | instid1(VALU_DEP_2)
	v_dual_add_f32 v56, v48, v49 :: v_dual_add_f32 v35, v35, v51
	v_dual_fma_f32 v36, v36, v20, -v50 :: v_dual_fmac_f32 v21, v37, v20
	v_dual_mul_f32 v20, v39, v23 :: v_dual_mul_f32 v23, v38, v23
	ds_load_b128 v[48:51], v26 offset:224
	ds_load_2addr_b64 v[52:55], v33 offset0:128 offset1:160
	v_dual_add_f32 v36, v56, v36 :: v_dual_add_f32 v21, v35, v21
	v_dual_fma_f32 v20, v38, v22, -v20 :: v_dual_fmac_f32 v23, v39, v22
	s_wait_dscnt 0x2
	v_dual_mul_f32 v35, v44, v41 :: v_dual_mul_f32 v41, v45, v41
	s_delay_alu instid0(VALU_DEP_2) | instskip(SKIP_4) | instid1(VALU_DEP_2)
	v_dual_add_f32 v56, v36, v20 :: v_dual_add_f32 v57, v21, v23
	ds_load_b128 v[20:23], v26 offset:240
	ds_load_2addr_b64 v[36:39], v33 offset0:192 offset1:224
	v_dual_fmac_f32 v35, v45, v40 :: v_dual_mul_f32 v45, v46, v43
	v_dual_fma_f32 v40, v44, v40, -v41 :: v_dual_mul_f32 v41, v47, v43
	v_dual_add_f32 v35, v57, v35 :: v_dual_fmac_f32 v45, v47, v42
	s_delay_alu instid0(VALU_DEP_2) | instskip(SKIP_2) | instid1(VALU_DEP_3)
	v_dual_add_f32 v40, v56, v40 :: v_dual_fma_f32 v41, v46, v42, -v41
	s_wait_dscnt 0x2
	v_dual_mul_f32 v43, v52, v49 :: v_dual_mul_f32 v42, v53, v49
	v_dual_add_f32 v35, v35, v45 :: v_dual_mul_f32 v44, v54, v51
	s_delay_alu instid0(VALU_DEP_2) | instskip(NEXT) | instid1(VALU_DEP_3)
	v_dual_add_f32 v40, v40, v41 :: v_dual_fmac_f32 v43, v53, v48
	v_dual_fma_f32 v41, v52, v48, -v42 :: v_dual_mul_f32 v42, v55, v51
	s_delay_alu instid0(VALU_DEP_3) | instskip(SKIP_1) | instid1(VALU_DEP_3)
	v_fmac_f32_e32 v44, v55, v50
	s_wait_dscnt 0x0
	v_dual_add_f32 v35, v35, v43 :: v_dual_mul_f32 v43, v36, v21
	s_delay_alu instid0(VALU_DEP_3) | instskip(NEXT) | instid1(VALU_DEP_2)
	v_dual_add_f32 v40, v40, v41 :: v_dual_fma_f32 v41, v54, v50, -v42
	v_dual_mul_f32 v21, v37, v21 :: v_dual_add_f32 v35, v35, v44
	s_delay_alu instid0(VALU_DEP_3) | instskip(NEXT) | instid1(VALU_DEP_3)
	v_dual_fmac_f32 v43, v37, v20 :: v_dual_mul_f32 v37, v38, v23
	v_add_f32_e32 v40, v40, v41
	s_delay_alu instid0(VALU_DEP_3) | instskip(NEXT) | instid1(VALU_DEP_3)
	v_dual_fma_f32 v20, v36, v20, -v21 :: v_dual_mul_f32 v23, v39, v23
	v_add_f32_e32 v21, v35, v43
	s_delay_alu instid0(VALU_DEP_2) | instskip(NEXT) | instid1(VALU_DEP_3)
	v_dual_fmac_f32 v37, v39, v22 :: v_dual_add_f32 v35, v40, v20
	v_fma_f32 v36, v38, v22, -v23
	v_mov_b64_e32 v[22:23], s[12:13]
	s_delay_alu instid0(VALU_DEP_2) | instskip(NEXT) | instid1(VALU_DEP_1)
	v_dual_add_f32 v20, v21, v37 :: v_dual_add_f32 v36, v35, v36
	v_pk_mul_f32 v[20:21], v[22:23], v[20:21] op_sel_hi:[1,0]
	v_mov_b64_e32 v[22:23], s[34:35]
	s_delay_alu instid0(VALU_DEP_1) | instskip(SKIP_1) | instid1(VALU_DEP_2)
	v_pk_fma_f32 v[38:39], v[22:23], v[36:37], v[20:21] op_sel_hi:[1,0,1]
	v_pk_fma_f32 v[20:21], v[22:23], v[36:37], v[20:21] neg_lo:[0,0,1] neg_hi:[0,0,1]
	v_mov_b32_e32 v21, v39
	s_wait_loadcnt 0x0
	s_delay_alu instid0(VALU_DEP_1)
	v_pk_add_f32 v[18:19], v[18:19], v[20:21]
	global_store_b64 v[16:17], v[18:19], off
	s_branch .LBB27_9
.LBB27_24:
	s_endpgm
	.section	.rodata,"a",@progbits
	.p2align	6, 0x0
	.amdhsa_kernel _ZL24rocblas_symm_hemm_kernelILb1ELb1ELi32E19rocblas_complex_numIfEPKS1_PS1_EvbiiT2_T3_lllS6_lllT4_llli
		.amdhsa_group_segment_fixed_size 16384
		.amdhsa_private_segment_fixed_size 0
		.amdhsa_kernarg_size 384
		.amdhsa_user_sgpr_count 2
		.amdhsa_user_sgpr_dispatch_ptr 0
		.amdhsa_user_sgpr_queue_ptr 0
		.amdhsa_user_sgpr_kernarg_segment_ptr 1
		.amdhsa_user_sgpr_dispatch_id 0
		.amdhsa_user_sgpr_kernarg_preload_length 0
		.amdhsa_user_sgpr_kernarg_preload_offset 0
		.amdhsa_user_sgpr_private_segment_size 0
		.amdhsa_wavefront_size32 1
		.amdhsa_uses_dynamic_stack 0
		.amdhsa_enable_private_segment 0
		.amdhsa_system_sgpr_workgroup_id_x 1
		.amdhsa_system_sgpr_workgroup_id_y 1
		.amdhsa_system_sgpr_workgroup_id_z 1
		.amdhsa_system_sgpr_workgroup_info 0
		.amdhsa_system_vgpr_workitem_id 1
		.amdhsa_next_free_vgpr 58
		.amdhsa_next_free_sgpr 43
		.amdhsa_named_barrier_count 0
		.amdhsa_reserve_vcc 1
		.amdhsa_float_round_mode_32 0
		.amdhsa_float_round_mode_16_64 0
		.amdhsa_float_denorm_mode_32 3
		.amdhsa_float_denorm_mode_16_64 3
		.amdhsa_fp16_overflow 0
		.amdhsa_memory_ordered 1
		.amdhsa_forward_progress 1
		.amdhsa_inst_pref_size 21
		.amdhsa_round_robin_scheduling 0
		.amdhsa_exception_fp_ieee_invalid_op 0
		.amdhsa_exception_fp_denorm_src 0
		.amdhsa_exception_fp_ieee_div_zero 0
		.amdhsa_exception_fp_ieee_overflow 0
		.amdhsa_exception_fp_ieee_underflow 0
		.amdhsa_exception_fp_ieee_inexact 0
		.amdhsa_exception_int_div_zero 0
	.end_amdhsa_kernel
	.section	.text._ZL24rocblas_symm_hemm_kernelILb1ELb1ELi32E19rocblas_complex_numIfEPKS1_PS1_EvbiiT2_T3_lllS6_lllT4_llli,"axG",@progbits,_ZL24rocblas_symm_hemm_kernelILb1ELb1ELi32E19rocblas_complex_numIfEPKS1_PS1_EvbiiT2_T3_lllS6_lllT4_llli,comdat
.Lfunc_end27:
	.size	_ZL24rocblas_symm_hemm_kernelILb1ELb1ELi32E19rocblas_complex_numIfEPKS1_PS1_EvbiiT2_T3_lllS6_lllT4_llli, .Lfunc_end27-_ZL24rocblas_symm_hemm_kernelILb1ELb1ELi32E19rocblas_complex_numIfEPKS1_PS1_EvbiiT2_T3_lllS6_lllT4_llli
                                        ; -- End function
	.set _ZL24rocblas_symm_hemm_kernelILb1ELb1ELi32E19rocblas_complex_numIfEPKS1_PS1_EvbiiT2_T3_lllS6_lllT4_llli.num_vgpr, 58
	.set _ZL24rocblas_symm_hemm_kernelILb1ELb1ELi32E19rocblas_complex_numIfEPKS1_PS1_EvbiiT2_T3_lllS6_lllT4_llli.num_agpr, 0
	.set _ZL24rocblas_symm_hemm_kernelILb1ELb1ELi32E19rocblas_complex_numIfEPKS1_PS1_EvbiiT2_T3_lllS6_lllT4_llli.numbered_sgpr, 43
	.set _ZL24rocblas_symm_hemm_kernelILb1ELb1ELi32E19rocblas_complex_numIfEPKS1_PS1_EvbiiT2_T3_lllS6_lllT4_llli.num_named_barrier, 0
	.set _ZL24rocblas_symm_hemm_kernelILb1ELb1ELi32E19rocblas_complex_numIfEPKS1_PS1_EvbiiT2_T3_lllS6_lllT4_llli.private_seg_size, 0
	.set _ZL24rocblas_symm_hemm_kernelILb1ELb1ELi32E19rocblas_complex_numIfEPKS1_PS1_EvbiiT2_T3_lllS6_lllT4_llli.uses_vcc, 1
	.set _ZL24rocblas_symm_hemm_kernelILb1ELb1ELi32E19rocblas_complex_numIfEPKS1_PS1_EvbiiT2_T3_lllS6_lllT4_llli.uses_flat_scratch, 0
	.set _ZL24rocblas_symm_hemm_kernelILb1ELb1ELi32E19rocblas_complex_numIfEPKS1_PS1_EvbiiT2_T3_lllS6_lllT4_llli.has_dyn_sized_stack, 0
	.set _ZL24rocblas_symm_hemm_kernelILb1ELb1ELi32E19rocblas_complex_numIfEPKS1_PS1_EvbiiT2_T3_lllS6_lllT4_llli.has_recursion, 0
	.set _ZL24rocblas_symm_hemm_kernelILb1ELb1ELi32E19rocblas_complex_numIfEPKS1_PS1_EvbiiT2_T3_lllS6_lllT4_llli.has_indirect_call, 0
	.section	.AMDGPU.csdata,"",@progbits
; Kernel info:
; codeLenInByte = 2592
; TotalNumSgprs: 45
; NumVgprs: 58
; ScratchSize: 0
; MemoryBound: 0
; FloatMode: 240
; IeeeMode: 1
; LDSByteSize: 16384 bytes/workgroup (compile time only)
; SGPRBlocks: 0
; VGPRBlocks: 3
; NumSGPRsForWavesPerEU: 45
; NumVGPRsForWavesPerEU: 58
; NamedBarCnt: 0
; Occupancy: 16
; WaveLimiterHint : 0
; COMPUTE_PGM_RSRC2:SCRATCH_EN: 0
; COMPUTE_PGM_RSRC2:USER_SGPR: 2
; COMPUTE_PGM_RSRC2:TRAP_HANDLER: 0
; COMPUTE_PGM_RSRC2:TGID_X_EN: 1
; COMPUTE_PGM_RSRC2:TGID_Y_EN: 1
; COMPUTE_PGM_RSRC2:TGID_Z_EN: 1
; COMPUTE_PGM_RSRC2:TIDIG_COMP_CNT: 1
	.section	.text._ZL24rocblas_symm_hemm_kernelILb1ELb0ELi32EPK19rocblas_complex_numIdES3_PS1_EvbiiT2_T3_lllS6_lllT4_llli,"axG",@progbits,_ZL24rocblas_symm_hemm_kernelILb1ELb0ELi32EPK19rocblas_complex_numIdES3_PS1_EvbiiT2_T3_lllS6_lllT4_llli,comdat
	.globl	_ZL24rocblas_symm_hemm_kernelILb1ELb0ELi32EPK19rocblas_complex_numIdES3_PS1_EvbiiT2_T3_lllS6_lllT4_llli ; -- Begin function _ZL24rocblas_symm_hemm_kernelILb1ELb0ELi32EPK19rocblas_complex_numIdES3_PS1_EvbiiT2_T3_lllS6_lllT4_llli
	.p2align	8
	.type	_ZL24rocblas_symm_hemm_kernelILb1ELb0ELi32EPK19rocblas_complex_numIdES3_PS1_EvbiiT2_T3_lllS6_lllT4_llli,@function
_ZL24rocblas_symm_hemm_kernelILb1ELb0ELi32EPK19rocblas_complex_numIdES3_PS1_EvbiiT2_T3_lllS6_lllT4_llli: ; @_ZL24rocblas_symm_hemm_kernelILb1ELb0ELi32EPK19rocblas_complex_numIdES3_PS1_EvbiiT2_T3_lllS6_lllT4_llli
; %bb.0:
	s_load_b512 s[4:19], s[0:1], 0x10
	s_wait_kmcnt 0x0
	s_load_b128 s[28:31], s[4:5], 0x0
	s_wait_kmcnt 0x0
	v_cmp_eq_f64_e64 s2, s[28:29], 0
	v_cmp_eq_f64_e64 s3, s[30:31], 0
	s_and_b32 s2, s2, s3
	s_delay_alu instid0(SALU_CYCLE_1)
	s_and_b32 vcc_lo, exec_lo, s2
	s_cbranch_vccnz .LBB28_26
; %bb.1:
	s_load_b32 s33, s[0:1], 0x78
	s_bfe_u32 s2, ttmp6, 0x40014
	s_lshr_b32 s4, ttmp7, 16
	s_add_co_i32 s2, s2, 1
	s_bfe_u32 s5, ttmp6, 0x40008
	s_mul_i32 s2, s4, s2
	s_getreg_b32 s3, hwreg(HW_REG_IB_STS2, 6, 4)
	s_add_co_i32 s5, s5, s2
	s_cmp_eq_u32 s3, 0
	s_cselect_b32 s4, s4, s5
	s_mov_b32 s5, 0
	s_wait_kmcnt 0x0
	s_cmp_ge_u32 s4, s33
	s_cbranch_scc1 .LBB28_26
; %bb.2:
	s_clause 0x1
	s_load_b96 s[36:38], s[0:1], 0x0
	s_load_b256 s[20:27], s[0:1], 0x50
	s_lshl_b64 s[16:17], s[16:17], 4
	s_lshl_b64 s[40:41], s[8:9], 4
	v_and_b32_e32 v26, 0x3ff, v0
	v_bfe_u32 v27, v0, 10, 10
	s_add_nc_u64 s[14:15], s[14:15], s[16:17]
	s_add_nc_u64 s[6:7], s[6:7], s[40:41]
	;; [unrolled: 1-line block ×3, first 2 shown]
	s_delay_alu instid0(VALU_DEP_1) | instskip(NEXT) | instid1(VALU_DEP_1)
	v_dual_lshlrev_b32 v28, 9, v26 :: v_dual_lshlrev_b32 v0, 4, v27
	v_or_b32_e32 v29, 0x4000, v0
	s_delay_alu instid0(VALU_DEP_2)
	v_add_nc_u32_e32 v30, v28, v0
	s_wait_kmcnt 0x0
	s_bitcmp1_b32 s36, 0
	s_cselect_b32 s2, -1, 0
	s_add_co_i32 s8, s38, -1
	s_lshl_b64 s[34:35], s[24:25], 4
	s_bfe_u32 s24, ttmp6, 0x4000c
	s_bfe_u32 s36, ttmp6, 0x40010
	s_ashr_i32 s42, s8, 31
	s_and_b32 s25, ttmp7, 0xffff
	s_add_co_i32 s24, s24, 1
	s_add_co_i32 s36, s36, 1
	s_lshr_b32 s42, s42, 27
	s_and_b32 s9, ttmp6, 15
	s_bfe_u32 s39, ttmp6, 0x40004
	s_mul_i32 s24, ttmp9, s24
	s_mul_i32 s36, s25, s36
	s_add_co_i32 s8, s8, s42
	s_add_co_i32 s9, s9, s24
	;; [unrolled: 1-line block ×3, first 2 shown]
	s_ashr_i32 s24, s8, 5
	s_cmp_eq_u32 s3, 0
	s_add_nc_u64 s[22:23], s[22:23], s[34:35]
	s_cselect_b32 s3, ttmp9, s9
	s_load_b64 s[8:9], s[0:1], 0x70
	v_lshl_add_u32 v8, s3, 5, v26
	s_cselect_b32 s25, s25, s39
	s_delay_alu instid0(SALU_CYCLE_1) | instskip(NEXT) | instid1(VALU_DEP_1)
	s_cmp_le_i32 s25, s24
	v_ashrrev_i32_e32 v9, 31, v8
	v_cmp_gt_i32_e64 s3, s37, v8
	s_cselect_b32 s34, -1, 0
	s_cmp_gt_i32 s37, 0
	v_mul_u64_e32 v[2:3], s[10:11], v[8:9]
	v_lshl_add_u64 v[10:11], v[8:9], 4, s[22:23]
	s_cselect_b32 s35, -1, 0
	s_delay_alu instid0(VALU_DEP_2)
	v_lshlrev_b64_e32 v[12:13], 4, v[2:3]
	s_branch .LBB28_4
.LBB28_3:                               ;   in Loop: Header=BB28_4 Depth=1
	s_add_co_i32 s4, s4, 0x10000
	s_delay_alu instid0(SALU_CYCLE_1)
	s_cmp_lt_u32 s4, s33
	s_cbranch_scc0 .LBB28_26
.LBB28_4:                               ; =>This Loop Header: Depth=1
                                        ;     Child Loop BB28_7 Depth 2
                                        ;       Child Loop BB28_10 Depth 3
                                        ;         Child Loop BB28_24 Depth 4
	s_and_not1_b32 vcc_lo, exec_lo, s34
	s_cbranch_vccnz .LBB28_3
; %bb.5:                                ;   in Loop: Header=BB28_4 Depth=1
	s_load_b32 s36, s[16:17], 0x4
	s_wait_xcnt 0x0
	s_mul_u64 s[0:1], s[12:13], s[4:5]
	s_wait_kmcnt 0x0
	s_mul_u64 s[40:41], s[8:9], s[4:5]
	s_lshl_b64 s[0:1], s[0:1], 4
	s_mul_u64 s[22:23], s[20:21], s[4:5]
	s_add_nc_u64 s[0:1], s[6:7], s[0:1]
	v_lshl_add_u64 v[18:19], s[40:41], 4, v[10:11]
	v_add_nc_u64_e32 v[16:17], s[0:1], v[12:13]
	v_lshl_add_u64 v[14:15], v[8:9], 4, s[0:1]
	s_lshl_b64 s[0:1], s[22:23], 4
	s_mov_b32 s39, s25
	s_add_nc_u64 s[22:23], s[14:15], s[0:1]
	s_branch .LBB28_7
.LBB28_6:                               ;   in Loop: Header=BB28_7 Depth=2
	s_add_co_i32 s39, s39, s36
	s_delay_alu instid0(SALU_CYCLE_1)
	s_cmp_gt_i32 s39, s24
	s_cbranch_scc1 .LBB28_3
.LBB28_7:                               ;   Parent Loop BB28_4 Depth=1
                                        ; =>  This Loop Header: Depth=2
                                        ;       Child Loop BB28_10 Depth 3
                                        ;         Child Loop BB28_24 Depth 4
	s_and_not1_b32 vcc_lo, exec_lo, s35
	s_cbranch_vccnz .LBB28_6
; %bb.8:                                ;   in Loop: Header=BB28_7 Depth=2
	v_lshl_add_u32 v0, s39, 5, v27
	s_mov_b32 s41, 0
	s_delay_alu instid0(VALU_DEP_1) | instskip(SKIP_1) | instid1(VALU_DEP_2)
	v_ashrrev_i32_e32 v1, 31, v0
	v_cmp_gt_i32_e32 vcc_lo, s38, v0
	v_mul_u64_e32 v[2:3], s[18:19], v[0:1]
	v_mul_u64_e32 v[4:5], s[26:27], v[0:1]
	s_and_b32 s40, s3, vcc_lo
	s_delay_alu instid0(VALU_DEP_2) | instskip(NEXT) | instid1(VALU_DEP_2)
	v_lshl_add_u64 v[20:21], v[2:3], 4, s[22:23]
	v_lshl_add_u64 v[22:23], v[4:5], 4, v[18:19]
	s_branch .LBB28_10
.LBB28_9:                               ;   in Loop: Header=BB28_10 Depth=3
	s_wait_xcnt 0x0
	s_or_b32 exec_lo, exec_lo, s0
	s_add_co_i32 s41, s41, 32
	s_wait_storecnt 0x0
	s_cmp_ge_i32 s41, s37
	s_barrier_signal -1
	s_barrier_wait -1
	s_cbranch_scc1 .LBB28_6
.LBB28_10:                              ;   Parent Loop BB28_4 Depth=1
                                        ;     Parent Loop BB28_7 Depth=2
                                        ; =>    This Loop Header: Depth=3
                                        ;         Child Loop BB28_24 Depth 4
	v_add_nc_u32_e32 v2, s41, v27
	v_mov_b64_e32 v[4:5], 0
	v_mov_b64_e32 v[6:7], 0
	s_mov_b32 s42, exec_lo
	s_delay_alu instid0(VALU_DEP_3) | instskip(NEXT) | instid1(VALU_DEP_1)
	v_dual_cndmask_b32 v3, v2, v8, s2 :: v_dual_cndmask_b32 v24, v8, v2, s2
	v_cmp_gt_i32_e64 s0, v3, v24
	s_delay_alu instid0(VALU_DEP_1) | instskip(SKIP_1) | instid1(VALU_DEP_2)
	v_dual_cndmask_b32 v0, v8, v2, s0 :: v_dual_cndmask_b32 v1, v2, v8, s0
	v_cmp_le_i32_e64 s0, v3, v24
	v_max_i32_e32 v25, v0, v1
	v_mov_b64_e32 v[0:1], 0
	s_delay_alu instid0(VALU_DEP_2)
	v_cmpx_gt_i32_e64 s37, v25
	s_cbranch_execz .LBB28_20
; %bb.11:                               ;   in Loop: Header=BB28_10 Depth=3
                                        ; implicit-def: $vgpr6_vgpr7
	s_and_saveexec_b32 s1, s0
	s_delay_alu instid0(SALU_CYCLE_1)
	s_xor_b32 s1, exec_lo, s1
	s_cbranch_execz .LBB28_17
; %bb.12:                               ;   in Loop: Header=BB28_10 Depth=3
	v_cmp_ne_u32_e64 s0, v8, v2
                                        ; implicit-def: $vgpr6_vgpr7
	s_and_saveexec_b32 s43, s0
	s_delay_alu instid0(SALU_CYCLE_1)
	s_xor_b32 s0, exec_lo, s43
	s_cbranch_execz .LBB28_14
; %bb.13:                               ;   in Loop: Header=BB28_10 Depth=3
	v_ashrrev_i32_e32 v3, 31, v2
	s_delay_alu instid0(VALU_DEP_1) | instskip(NEXT) | instid1(VALU_DEP_1)
	v_mul_u64_e32 v[2:3], s[10:11], v[2:3]
	v_lshl_add_u64 v[2:3], v[2:3], 4, v[14:15]
	global_load_b128 v[4:7], v[2:3], off
.LBB28_14:                              ;   in Loop: Header=BB28_10 Depth=3
	s_wait_xcnt 0x0
	s_and_not1_saveexec_b32 s0, s0
	s_cbranch_execz .LBB28_16
; %bb.15:                               ;   in Loop: Header=BB28_10 Depth=3
	v_add_nc_u64_e32 v[2:3], v[14:15], v[12:13]
	s_wait_loadcnt 0x0
	v_mov_b64_e32 v[6:7], 0
	global_load_b64 v[4:5], v[2:3], off
.LBB28_16:                              ;   in Loop: Header=BB28_10 Depth=3
	s_wait_xcnt 0x0
	s_or_b32 exec_lo, exec_lo, s0
                                        ; implicit-def: $vgpr2
.LBB28_17:                              ;   in Loop: Header=BB28_10 Depth=3
	s_and_not1_saveexec_b32 s0, s1
	s_cbranch_execz .LBB28_19
; %bb.18:                               ;   in Loop: Header=BB28_10 Depth=3
	v_ashrrev_i32_e32 v3, 31, v2
	s_delay_alu instid0(VALU_DEP_1)
	v_lshl_add_u64 v[2:3], v[2:3], 4, v[16:17]
	s_wait_loadcnt 0x0
	global_load_b128 v[4:7], v[2:3], off
	s_wait_loadcnt 0x0
	v_xor_b32_e32 v7, 0x80000000, v7
.LBB28_19:                              ;   in Loop: Header=BB28_10 Depth=3
	s_or_b32 exec_lo, exec_lo, s0
.LBB28_20:                              ;   in Loop: Header=BB28_10 Depth=3
	s_delay_alu instid0(SALU_CYCLE_1)
	s_or_b32 exec_lo, exec_lo, s42
	v_add_nc_u32_e32 v24, s41, v26
	v_mov_b64_e32 v[2:3], 0
	s_wait_loadcnt 0x0
	ds_store_b128 v30, v[4:7]
	v_cmp_gt_i32_e64 s0, s37, v24
	s_and_b32 s1, s0, vcc_lo
	s_delay_alu instid0(SALU_CYCLE_1)
	s_and_saveexec_b32 s0, s1
	s_cbranch_execz .LBB28_22
; %bb.21:                               ;   in Loop: Header=BB28_10 Depth=3
	v_ashrrev_i32_e32 v25, 31, v24
	s_delay_alu instid0(VALU_DEP_1)
	v_lshl_add_u64 v[0:1], v[24:25], 4, v[20:21]
	global_load_b128 v[0:3], v[0:1], off
.LBB28_22:                              ;   in Loop: Header=BB28_10 Depth=3
	s_wait_xcnt 0x0
	s_or_b32 exec_lo, exec_lo, s0
	v_add_nc_u32_e32 v4, v29, v28
	s_wait_loadcnt 0x0
	ds_store_b128 v4, v[0:3]
	s_wait_dscnt 0x0
	s_barrier_signal -1
	s_barrier_wait -1
	s_and_saveexec_b32 s0, s40
	s_cbranch_execz .LBB28_9
; %bb.23:                               ;   in Loop: Header=BB28_10 Depth=3
	v_mov_b64_e32 v[0:1], 0
	v_mov_b64_e32 v[2:3], 0
	v_mov_b32_e32 v4, v29
	s_mov_b32 s1, 0
.LBB28_24:                              ;   Parent Loop BB28_4 Depth=1
                                        ;     Parent Loop BB28_7 Depth=2
                                        ;       Parent Loop BB28_10 Depth=3
                                        ; =>      This Inner Loop Header: Depth=4
	s_delay_alu instid0(SALU_CYCLE_1)
	v_add_nc_u32_e32 v5, s1, v28
	s_addk_co_i32 s1, 0x80
	ds_load_b128 v[32:35], v4
	ds_load_b128 v[36:39], v5
	ds_load_b128 v[40:43], v4 offset:512
	ds_load_b128 v[44:47], v5 offset:16
	s_cmp_eq_u32 s1, 0x200
	s_wait_dscnt 0x2
	v_mul_f64_e32 v[6:7], v[34:35], v[38:39]
	v_mul_f64_e32 v[24:25], v[32:33], v[38:39]
	s_wait_dscnt 0x0
	v_mul_f64_e32 v[54:55], v[42:43], v[46:47]
	v_mul_f64_e32 v[56:57], v[40:41], v[46:47]
	s_delay_alu instid0(VALU_DEP_4) | instskip(NEXT) | instid1(VALU_DEP_4)
	v_fma_f64 v[6:7], v[32:33], v[36:37], -v[6:7]
	v_fmac_f64_e32 v[24:25], v[34:35], v[36:37]
	ds_load_b128 v[32:35], v4 offset:1024
	ds_load_b128 v[36:39], v5 offset:32
	;; [unrolled: 1-line block ×4, first 2 shown]
	v_fmac_f64_e32 v[56:57], v[42:43], v[44:45]
	s_wait_dscnt 0x2
	v_mul_f64_e32 v[58:59], v[34:35], v[38:39]
	v_mul_f64_e32 v[60:61], v[32:33], v[38:39]
	v_fma_f64 v[38:39], v[40:41], v[44:45], -v[54:55]
	v_add_f64_e32 v[0:1], v[0:1], v[6:7]
	v_add_f64_e32 v[2:3], v[2:3], v[24:25]
	s_wait_dscnt 0x0
	v_mul_f64_e32 v[6:7], v[48:49], v[52:53]
	v_mul_f64_e32 v[24:25], v[46:47], v[52:53]
	v_fma_f64 v[44:45], v[32:33], v[36:37], -v[58:59]
	v_fmac_f64_e32 v[60:61], v[34:35], v[36:37]
	v_add_f64_e32 v[52:53], v[0:1], v[38:39]
	v_add_f64_e32 v[54:55], v[2:3], v[56:57]
	ds_load_b128 v[0:3], v4 offset:2048
	ds_load_b128 v[32:35], v5 offset:64
	;; [unrolled: 1-line block ×4, first 2 shown]
	v_fma_f64 v[6:7], v[46:47], v[50:51], -v[6:7]
	v_fmac_f64_e32 v[24:25], v[48:49], v[50:51]
	s_wait_dscnt 0x2
	v_mul_f64_e32 v[56:57], v[2:3], v[34:35]
	v_mul_f64_e32 v[58:59], v[0:1], v[34:35]
	s_wait_dscnt 0x0
	v_mul_f64_e32 v[50:51], v[38:39], v[42:43]
	v_add_f64_e32 v[34:35], v[52:53], v[44:45]
	v_add_f64_e32 v[44:45], v[54:55], v[60:61]
	v_mul_f64_e32 v[52:53], v[36:37], v[42:43]
	v_fma_f64 v[54:55], v[0:1], v[32:33], -v[56:57]
	v_fmac_f64_e32 v[58:59], v[2:3], v[32:33]
	v_fma_f64 v[36:37], v[36:37], v[40:41], -v[50:51]
	v_add_f64_e32 v[6:7], v[34:35], v[6:7]
	v_add_f64_e32 v[24:25], v[44:45], v[24:25]
	ds_load_b128 v[0:3], v4 offset:3072
	ds_load_b128 v[32:35], v5 offset:96
	;; [unrolled: 1-line block ×4, first 2 shown]
	v_fmac_f64_e32 v[52:53], v[38:39], v[40:41]
	v_add_nc_u32_e32 v4, 0x1000, v4
	s_wait_dscnt 0x2
	v_mul_f64_e32 v[56:57], v[2:3], v[34:35]
	v_mul_f64_e32 v[34:35], v[0:1], v[34:35]
	s_wait_dscnt 0x0
	v_mul_f64_e32 v[38:39], v[44:45], v[48:49]
	v_mul_f64_e32 v[40:41], v[42:43], v[48:49]
	v_add_f64_e32 v[6:7], v[6:7], v[54:55]
	v_add_f64_e32 v[24:25], v[24:25], v[58:59]
	v_fma_f64 v[0:1], v[0:1], v[32:33], -v[56:57]
	v_fmac_f64_e32 v[34:35], v[2:3], v[32:33]
	v_fmac_f64_e32 v[40:41], v[44:45], v[46:47]
	v_add_f64_e32 v[2:3], v[6:7], v[36:37]
	v_add_f64_e32 v[6:7], v[24:25], v[52:53]
	v_fma_f64 v[24:25], v[42:43], v[46:47], -v[38:39]
	s_delay_alu instid0(VALU_DEP_3) | instskip(NEXT) | instid1(VALU_DEP_3)
	v_add_f64_e32 v[0:1], v[2:3], v[0:1]
	v_add_f64_e32 v[2:3], v[6:7], v[34:35]
	s_delay_alu instid0(VALU_DEP_2) | instskip(NEXT) | instid1(VALU_DEP_2)
	v_add_f64_e32 v[0:1], v[0:1], v[24:25]
	v_add_f64_e32 v[2:3], v[2:3], v[40:41]
	s_cbranch_scc0 .LBB28_24
; %bb.25:                               ;   in Loop: Header=BB28_10 Depth=3
	global_load_b128 v[4:7], v[22:23], off
	v_mul_f64_e32 v[24:25], s[30:31], v[2:3]
	v_mul_f64_e32 v[32:33], s[30:31], v[0:1]
	s_delay_alu instid0(VALU_DEP_2) | instskip(NEXT) | instid1(VALU_DEP_2)
	v_fma_f64 v[0:1], s[28:29], v[0:1], -v[24:25]
	v_fmac_f64_e32 v[32:33], s[28:29], v[2:3]
	s_wait_loadcnt 0x0
	s_delay_alu instid0(VALU_DEP_2) | instskip(NEXT) | instid1(VALU_DEP_2)
	v_add_f64_e32 v[0:1], v[0:1], v[4:5]
	v_add_f64_e32 v[2:3], v[32:33], v[6:7]
	global_store_b128 v[22:23], v[0:3], off
	s_branch .LBB28_9
.LBB28_26:
	s_endpgm
	.section	.rodata,"a",@progbits
	.p2align	6, 0x0
	.amdhsa_kernel _ZL24rocblas_symm_hemm_kernelILb1ELb0ELi32EPK19rocblas_complex_numIdES3_PS1_EvbiiT2_T3_lllS6_lllT4_llli
		.amdhsa_group_segment_fixed_size 32768
		.amdhsa_private_segment_fixed_size 0
		.amdhsa_kernarg_size 384
		.amdhsa_user_sgpr_count 2
		.amdhsa_user_sgpr_dispatch_ptr 0
		.amdhsa_user_sgpr_queue_ptr 0
		.amdhsa_user_sgpr_kernarg_segment_ptr 1
		.amdhsa_user_sgpr_dispatch_id 0
		.amdhsa_user_sgpr_kernarg_preload_length 0
		.amdhsa_user_sgpr_kernarg_preload_offset 0
		.amdhsa_user_sgpr_private_segment_size 0
		.amdhsa_wavefront_size32 1
		.amdhsa_uses_dynamic_stack 0
		.amdhsa_enable_private_segment 0
		.amdhsa_system_sgpr_workgroup_id_x 1
		.amdhsa_system_sgpr_workgroup_id_y 1
		.amdhsa_system_sgpr_workgroup_id_z 1
		.amdhsa_system_sgpr_workgroup_info 0
		.amdhsa_system_vgpr_workitem_id 1
		.amdhsa_next_free_vgpr 62
		.amdhsa_next_free_sgpr 44
		.amdhsa_named_barrier_count 0
		.amdhsa_reserve_vcc 1
		.amdhsa_float_round_mode_32 0
		.amdhsa_float_round_mode_16_64 0
		.amdhsa_float_denorm_mode_32 3
		.amdhsa_float_denorm_mode_16_64 3
		.amdhsa_fp16_overflow 0
		.amdhsa_memory_ordered 1
		.amdhsa_forward_progress 1
		.amdhsa_inst_pref_size 12
		.amdhsa_round_robin_scheduling 0
		.amdhsa_exception_fp_ieee_invalid_op 0
		.amdhsa_exception_fp_denorm_src 0
		.amdhsa_exception_fp_ieee_div_zero 0
		.amdhsa_exception_fp_ieee_overflow 0
		.amdhsa_exception_fp_ieee_underflow 0
		.amdhsa_exception_fp_ieee_inexact 0
		.amdhsa_exception_int_div_zero 0
	.end_amdhsa_kernel
	.section	.text._ZL24rocblas_symm_hemm_kernelILb1ELb0ELi32EPK19rocblas_complex_numIdES3_PS1_EvbiiT2_T3_lllS6_lllT4_llli,"axG",@progbits,_ZL24rocblas_symm_hemm_kernelILb1ELb0ELi32EPK19rocblas_complex_numIdES3_PS1_EvbiiT2_T3_lllS6_lllT4_llli,comdat
.Lfunc_end28:
	.size	_ZL24rocblas_symm_hemm_kernelILb1ELb0ELi32EPK19rocblas_complex_numIdES3_PS1_EvbiiT2_T3_lllS6_lllT4_llli, .Lfunc_end28-_ZL24rocblas_symm_hemm_kernelILb1ELb0ELi32EPK19rocblas_complex_numIdES3_PS1_EvbiiT2_T3_lllS6_lllT4_llli
                                        ; -- End function
	.set _ZL24rocblas_symm_hemm_kernelILb1ELb0ELi32EPK19rocblas_complex_numIdES3_PS1_EvbiiT2_T3_lllS6_lllT4_llli.num_vgpr, 62
	.set _ZL24rocblas_symm_hemm_kernelILb1ELb0ELi32EPK19rocblas_complex_numIdES3_PS1_EvbiiT2_T3_lllS6_lllT4_llli.num_agpr, 0
	.set _ZL24rocblas_symm_hemm_kernelILb1ELb0ELi32EPK19rocblas_complex_numIdES3_PS1_EvbiiT2_T3_lllS6_lllT4_llli.numbered_sgpr, 44
	.set _ZL24rocblas_symm_hemm_kernelILb1ELb0ELi32EPK19rocblas_complex_numIdES3_PS1_EvbiiT2_T3_lllS6_lllT4_llli.num_named_barrier, 0
	.set _ZL24rocblas_symm_hemm_kernelILb1ELb0ELi32EPK19rocblas_complex_numIdES3_PS1_EvbiiT2_T3_lllS6_lllT4_llli.private_seg_size, 0
	.set _ZL24rocblas_symm_hemm_kernelILb1ELb0ELi32EPK19rocblas_complex_numIdES3_PS1_EvbiiT2_T3_lllS6_lllT4_llli.uses_vcc, 1
	.set _ZL24rocblas_symm_hemm_kernelILb1ELb0ELi32EPK19rocblas_complex_numIdES3_PS1_EvbiiT2_T3_lllS6_lllT4_llli.uses_flat_scratch, 0
	.set _ZL24rocblas_symm_hemm_kernelILb1ELb0ELi32EPK19rocblas_complex_numIdES3_PS1_EvbiiT2_T3_lllS6_lllT4_llli.has_dyn_sized_stack, 0
	.set _ZL24rocblas_symm_hemm_kernelILb1ELb0ELi32EPK19rocblas_complex_numIdES3_PS1_EvbiiT2_T3_lllS6_lllT4_llli.has_recursion, 0
	.set _ZL24rocblas_symm_hemm_kernelILb1ELb0ELi32EPK19rocblas_complex_numIdES3_PS1_EvbiiT2_T3_lllS6_lllT4_llli.has_indirect_call, 0
	.section	.AMDGPU.csdata,"",@progbits
; Kernel info:
; codeLenInByte = 1516
; TotalNumSgprs: 46
; NumVgprs: 62
; ScratchSize: 0
; MemoryBound: 1
; FloatMode: 240
; IeeeMode: 1
; LDSByteSize: 32768 bytes/workgroup (compile time only)
; SGPRBlocks: 0
; VGPRBlocks: 3
; NumSGPRsForWavesPerEU: 46
; NumVGPRsForWavesPerEU: 62
; NamedBarCnt: 0
; Occupancy: 16
; WaveLimiterHint : 1
; COMPUTE_PGM_RSRC2:SCRATCH_EN: 0
; COMPUTE_PGM_RSRC2:USER_SGPR: 2
; COMPUTE_PGM_RSRC2:TRAP_HANDLER: 0
; COMPUTE_PGM_RSRC2:TGID_X_EN: 1
; COMPUTE_PGM_RSRC2:TGID_Y_EN: 1
; COMPUTE_PGM_RSRC2:TGID_Z_EN: 1
; COMPUTE_PGM_RSRC2:TIDIG_COMP_CNT: 1
	.section	.text._ZL24rocblas_symm_hemm_kernelILb1ELb1ELi32EPK19rocblas_complex_numIdES3_PS1_EvbiiT2_T3_lllS6_lllT4_llli,"axG",@progbits,_ZL24rocblas_symm_hemm_kernelILb1ELb1ELi32EPK19rocblas_complex_numIdES3_PS1_EvbiiT2_T3_lllS6_lllT4_llli,comdat
	.globl	_ZL24rocblas_symm_hemm_kernelILb1ELb1ELi32EPK19rocblas_complex_numIdES3_PS1_EvbiiT2_T3_lllS6_lllT4_llli ; -- Begin function _ZL24rocblas_symm_hemm_kernelILb1ELb1ELi32EPK19rocblas_complex_numIdES3_PS1_EvbiiT2_T3_lllS6_lllT4_llli
	.p2align	8
	.type	_ZL24rocblas_symm_hemm_kernelILb1ELb1ELi32EPK19rocblas_complex_numIdES3_PS1_EvbiiT2_T3_lllS6_lllT4_llli,@function
_ZL24rocblas_symm_hemm_kernelILb1ELb1ELi32EPK19rocblas_complex_numIdES3_PS1_EvbiiT2_T3_lllS6_lllT4_llli: ; @_ZL24rocblas_symm_hemm_kernelILb1ELb1ELi32EPK19rocblas_complex_numIdES3_PS1_EvbiiT2_T3_lllS6_lllT4_llli
; %bb.0:
	s_load_b512 s[4:19], s[0:1], 0x10
	s_wait_kmcnt 0x0
	s_load_b128 s[28:31], s[4:5], 0x0
	s_wait_kmcnt 0x0
	v_cmp_eq_f64_e64 s2, s[28:29], 0
	v_cmp_eq_f64_e64 s3, s[30:31], 0
	s_and_b32 s2, s2, s3
	s_delay_alu instid0(SALU_CYCLE_1)
	s_and_b32 vcc_lo, exec_lo, s2
	s_cbranch_vccnz .LBB29_26
; %bb.1:
	s_load_b32 s33, s[0:1], 0x78
	s_bfe_u32 s2, ttmp6, 0x40014
	s_lshr_b32 s4, ttmp7, 16
	s_add_co_i32 s2, s2, 1
	s_bfe_u32 s5, ttmp6, 0x40008
	s_mul_i32 s2, s4, s2
	s_getreg_b32 s3, hwreg(HW_REG_IB_STS2, 6, 4)
	s_add_co_i32 s5, s5, s2
	s_cmp_eq_u32 s3, 0
	s_cselect_b32 s4, s4, s5
	s_mov_b32 s5, 0
	s_wait_kmcnt 0x0
	s_cmp_ge_u32 s4, s33
	s_cbranch_scc1 .LBB29_26
; %bb.2:
	s_clause 0x1
	s_load_b96 s[36:38], s[0:1], 0x0
	s_load_b256 s[20:27], s[0:1], 0x50
	s_lshl_b64 s[34:35], s[8:9], 4
	v_and_b32_e32 v28, 0x3ff, v0
	v_bfe_u32 v29, v0, 10, 10
	s_add_nc_u64 s[6:7], s[6:7], s[34:35]
	s_delay_alu instid0(VALU_DEP_1) | instskip(NEXT) | instid1(VALU_DEP_1)
	v_dual_lshlrev_b32 v30, 9, v28 :: v_dual_lshlrev_b32 v2, 4, v29
	v_or_b32_e32 v31, 0x4000, v2
	s_delay_alu instid0(VALU_DEP_2)
	v_add_nc_u32_e32 v32, v30, v2
	s_wait_kmcnt 0x0
	s_bitcmp1_b32 s36, 0
	s_cselect_b32 s2, -1, 0
	s_add_co_i32 s8, s38, -1
	s_lshl_b64 s[40:41], s[24:25], 4
	s_bfe_u32 s24, ttmp6, 0x4000c
	s_bfe_u32 s36, ttmp6, 0x40010
	s_ashr_i32 s42, s8, 31
	s_and_b32 s25, ttmp7, 0xffff
	s_add_co_i32 s24, s24, 1
	s_add_co_i32 s36, s36, 1
	s_lshr_b32 s42, s42, 27
	s_and_b32 s9, ttmp6, 15
	s_bfe_u32 s39, ttmp6, 0x40004
	s_mul_i32 s24, ttmp9, s24
	s_mul_i32 s36, s25, s36
	s_add_co_i32 s8, s8, s42
	s_lshl_b64 s[16:17], s[16:17], 4
	s_add_co_i32 s9, s9, s24
	s_add_co_i32 s39, s39, s36
	s_ashr_i32 s24, s8, 5
	s_cmp_eq_u32 s3, 0
	s_add_nc_u64 s[14:15], s[14:15], s[16:17]
	s_cselect_b32 s3, ttmp9, s9
	s_load_b64 s[8:9], s[0:1], 0x70
	v_lshl_add_u32 v0, s3, 5, v28
	s_add_nc_u64 s[16:17], s[22:23], s[40:41]
	s_cselect_b32 s25, s25, s39
	s_delay_alu instid0(SALU_CYCLE_1) | instskip(NEXT) | instid1(VALU_DEP_1)
	s_cmp_le_i32 s25, s24
	v_ashrrev_i32_e32 v1, 31, v0
	v_cmp_gt_i32_e64 s3, s37, v0
	s_cselect_b32 s22, -1, 0
	s_cmp_gt_i32 s38, 0
	v_lshlrev_b64_e32 v[2:3], 4, v[0:1]
	s_cselect_b32 s23, -1, 0
	s_delay_alu instid0(VALU_DEP_1)
	v_add_nc_u64_e32 v[8:9], s[14:15], v[2:3]
	v_add_nc_u64_e32 v[10:11], s[16:17], v[2:3]
	s_add_nc_u64 s[14:15], s[0:1], 0x80
	s_branch .LBB29_4
.LBB29_3:                               ;   in Loop: Header=BB29_4 Depth=1
	s_add_co_i32 s4, s4, 0x10000
	s_delay_alu instid0(SALU_CYCLE_1)
	s_cmp_lt_u32 s4, s33
	s_cbranch_scc0 .LBB29_26
.LBB29_4:                               ; =>This Loop Header: Depth=1
                                        ;     Child Loop BB29_7 Depth 2
                                        ;       Child Loop BB29_10 Depth 3
                                        ;         Child Loop BB29_24 Depth 4
	s_and_not1_b32 vcc_lo, exec_lo, s22
	s_cbranch_vccnz .LBB29_3
; %bb.5:                                ;   in Loop: Header=BB29_4 Depth=1
	s_wait_xcnt 0x0
	s_load_b32 s1, s[14:15], 0x4
	s_mul_u64 s[34:35], s[20:21], s[4:5]
	s_wait_kmcnt 0x0
	s_mul_u64 s[36:37], s[8:9], s[4:5]
	s_mul_u64 s[16:17], s[12:13], s[4:5]
	v_lshl_add_u64 v[12:13], s[34:35], 4, v[8:9]
	v_lshl_add_u64 v[14:15], s[36:37], 4, v[10:11]
	s_lshl_b64 s[16:17], s[16:17], 4
	s_mov_b32 s34, s25
	s_add_nc_u64 s[16:17], s[6:7], s[16:17]
	s_branch .LBB29_7
.LBB29_6:                               ;   in Loop: Header=BB29_7 Depth=2
	s_add_co_i32 s34, s34, s1
	s_delay_alu instid0(SALU_CYCLE_1)
	s_cmp_gt_i32 s34, s24
	s_cbranch_scc1 .LBB29_3
.LBB29_7:                               ;   Parent Loop BB29_4 Depth=1
                                        ; =>  This Loop Header: Depth=2
                                        ;       Child Loop BB29_10 Depth 3
                                        ;         Child Loop BB29_24 Depth 4
	s_and_not1_b32 vcc_lo, exec_lo, s23
	s_cbranch_vccnz .LBB29_6
; %bb.8:                                ;   in Loop: Header=BB29_7 Depth=2
	v_lshl_add_u32 v16, s34, 5, v29
	s_mov_b32 s36, 0
	s_delay_alu instid0(VALU_DEP_1) | instskip(SKIP_1) | instid1(VALU_DEP_2)
	v_ashrrev_i32_e32 v17, 31, v16
	v_cmp_gt_i32_e32 vcc_lo, s38, v16
	v_mul_u64_e32 v[0:1], s[10:11], v[16:17]
	v_mul_u64_e32 v[2:3], s[26:27], v[16:17]
	v_lshlrev_b64_e32 v[4:5], 4, v[16:17]
	s_and_b32 s35, s3, vcc_lo
	s_delay_alu instid0(VALU_DEP_1) | instskip(NEXT) | instid1(VALU_DEP_4)
	v_add_nc_u64_e32 v[20:21], s[16:17], v[4:5]
	v_lshl_add_u64 v[18:19], v[0:1], 4, s[16:17]
	s_delay_alu instid0(VALU_DEP_4) | instskip(NEXT) | instid1(VALU_DEP_2)
	v_lshl_add_u64 v[24:25], v[2:3], 4, v[14:15]
	v_add_nc_u64_e32 v[22:23], v[18:19], v[4:5]
	s_branch .LBB29_10
.LBB29_9:                               ;   in Loop: Header=BB29_10 Depth=3
	s_wait_xcnt 0x0
	s_or_b32 exec_lo, exec_lo, s0
	s_add_co_i32 s36, s36, 32
	s_wait_storecnt 0x0
	s_cmp_ge_i32 s36, s38
	s_barrier_signal -1
	s_barrier_wait -1
	s_cbranch_scc1 .LBB29_6
.LBB29_10:                              ;   Parent Loop BB29_4 Depth=1
                                        ;     Parent Loop BB29_7 Depth=2
                                        ; =>    This Loop Header: Depth=3
                                        ;         Child Loop BB29_24 Depth 4
	v_add_nc_u32_e32 v2, s36, v29
	v_mov_b64_e32 v[0:1], 0
	v_mov_b64_e32 v[4:5], 0
	;; [unrolled: 1-line block ×3, first 2 shown]
	s_delay_alu instid0(VALU_DEP_4) | instskip(SKIP_1) | instid1(SALU_CYCLE_1)
	v_cmp_gt_i32_e32 vcc_lo, s38, v2
	s_and_b32 s37, s3, vcc_lo
	s_and_saveexec_b32 s0, s37
	s_cbranch_execz .LBB29_12
; %bb.11:                               ;   in Loop: Header=BB29_10 Depth=3
	v_ashrrev_i32_e32 v3, 31, v2
	s_delay_alu instid0(VALU_DEP_1) | instskip(NEXT) | instid1(VALU_DEP_1)
	v_mul_u64_e32 v[2:3], s[18:19], v[2:3]
	v_lshl_add_u64 v[2:3], v[2:3], 4, v[12:13]
	global_load_b128 v[4:7], v[2:3], off
.LBB29_12:                              ;   in Loop: Header=BB29_10 Depth=3
	s_wait_xcnt 0x0
	s_or_b32 exec_lo, exec_lo, s0
	v_add_nc_u32_e32 v26, s36, v28
	s_mov_b32 s37, exec_lo
	s_wait_loadcnt 0x0
	ds_store_b128 v32, v[4:7]
	v_dual_cndmask_b32 v17, v16, v26, s2 :: v_dual_cndmask_b32 v27, v26, v16, s2
	s_delay_alu instid0(VALU_DEP_1) | instskip(SKIP_2) | instid1(VALU_DEP_2)
	v_cmp_gt_i32_e32 vcc_lo, v17, v27
	v_dual_cndmask_b32 v2, v26, v16 :: v_dual_cndmask_b32 v3, v16, v26
	v_cmp_le_i32_e32 vcc_lo, v17, v27
	v_max_i32_e32 v33, v2, v3
	v_mov_b64_e32 v[2:3], 0
	s_delay_alu instid0(VALU_DEP_2)
	v_cmpx_gt_i32_e64 s38, v33
	s_cbranch_execz .LBB29_22
; %bb.13:                               ;   in Loop: Header=BB29_10 Depth=3
                                        ; implicit-def: $vgpr2_vgpr3
	s_and_saveexec_b32 s0, vcc_lo
	s_delay_alu instid0(SALU_CYCLE_1)
	s_xor_b32 s0, exec_lo, s0
	s_cbranch_execz .LBB29_19
; %bb.14:                               ;   in Loop: Header=BB29_10 Depth=3
	s_mov_b32 s39, exec_lo
                                        ; implicit-def: $vgpr2_vgpr3
	v_cmpx_ne_u32_e64 v26, v16
	s_xor_b32 s39, exec_lo, s39
	s_cbranch_execz .LBB29_16
; %bb.15:                               ;   in Loop: Header=BB29_10 Depth=3
	v_ashrrev_i32_e32 v27, 31, v26
	s_delay_alu instid0(VALU_DEP_1)
	v_lshl_add_u64 v[0:1], v[26:27], 4, v[18:19]
	global_load_b128 v[0:3], v[0:1], off
.LBB29_16:                              ;   in Loop: Header=BB29_10 Depth=3
	s_wait_xcnt 0x0
	s_and_not1_saveexec_b32 s39, s39
	s_cbranch_execz .LBB29_18
; %bb.17:                               ;   in Loop: Header=BB29_10 Depth=3
	s_wait_loadcnt 0x0
	global_load_b64 v[0:1], v[22:23], off
	v_mov_b64_e32 v[2:3], 0
.LBB29_18:                              ;   in Loop: Header=BB29_10 Depth=3
	s_wait_xcnt 0x0
	s_or_b32 exec_lo, exec_lo, s39
                                        ; implicit-def: $vgpr26
.LBB29_19:                              ;   in Loop: Header=BB29_10 Depth=3
	s_and_not1_saveexec_b32 s0, s0
	s_cbranch_execz .LBB29_21
; %bb.20:                               ;   in Loop: Header=BB29_10 Depth=3
	v_ashrrev_i32_e32 v27, 31, v26
	s_wait_loadcnt 0x0
	s_delay_alu instid0(VALU_DEP_1) | instskip(NEXT) | instid1(VALU_DEP_1)
	v_mul_u64_e32 v[0:1], s[10:11], v[26:27]
	v_lshl_add_u64 v[0:1], v[0:1], 4, v[20:21]
	global_load_b128 v[0:3], v[0:1], off
	s_wait_loadcnt 0x0
	v_xor_b32_e32 v3, 0x80000000, v3
.LBB29_21:                              ;   in Loop: Header=BB29_10 Depth=3
	s_or_b32 exec_lo, exec_lo, s0
.LBB29_22:                              ;   in Loop: Header=BB29_10 Depth=3
	s_delay_alu instid0(SALU_CYCLE_1)
	s_or_b32 exec_lo, exec_lo, s37
	v_add_nc_u32_e32 v4, v31, v30
	s_wait_loadcnt 0x0
	ds_store_b128 v4, v[0:3]
	s_wait_dscnt 0x0
	s_barrier_signal -1
	s_barrier_wait -1
	s_and_saveexec_b32 s0, s35
	s_cbranch_execz .LBB29_9
; %bb.23:                               ;   in Loop: Header=BB29_10 Depth=3
	v_mov_b64_e32 v[0:1], 0
	v_mov_b64_e32 v[2:3], 0
	v_mov_b32_e32 v4, v31
	s_mov_b32 s37, 0
.LBB29_24:                              ;   Parent Loop BB29_4 Depth=1
                                        ;     Parent Loop BB29_7 Depth=2
                                        ;       Parent Loop BB29_10 Depth=3
                                        ; =>      This Inner Loop Header: Depth=4
	s_delay_alu instid0(SALU_CYCLE_1)
	v_add_nc_u32_e32 v5, s37, v30
	s_addk_co_i32 s37, 0x80
	ds_load_b128 v[34:37], v4
	ds_load_b128 v[38:41], v5
	ds_load_b128 v[42:45], v4 offset:512
	ds_load_b128 v[46:49], v5 offset:16
	s_cmp_eq_u32 s37, 0x200
	s_wait_dscnt 0x2
	v_mul_f64_e32 v[6:7], v[36:37], v[40:41]
	v_mul_f64_e32 v[26:27], v[34:35], v[40:41]
	s_wait_dscnt 0x0
	v_mul_f64_e32 v[56:57], v[44:45], v[48:49]
	v_mul_f64_e32 v[58:59], v[42:43], v[48:49]
	s_delay_alu instid0(VALU_DEP_4) | instskip(NEXT) | instid1(VALU_DEP_4)
	v_fma_f64 v[6:7], v[34:35], v[38:39], -v[6:7]
	v_fmac_f64_e32 v[26:27], v[36:37], v[38:39]
	ds_load_b128 v[34:37], v4 offset:1024
	ds_load_b128 v[38:41], v5 offset:32
	;; [unrolled: 1-line block ×4, first 2 shown]
	v_fmac_f64_e32 v[58:59], v[44:45], v[46:47]
	s_wait_dscnt 0x2
	v_mul_f64_e32 v[60:61], v[36:37], v[40:41]
	v_mul_f64_e32 v[62:63], v[34:35], v[40:41]
	v_fma_f64 v[40:41], v[42:43], v[46:47], -v[56:57]
	v_add_f64_e32 v[0:1], v[0:1], v[6:7]
	v_add_f64_e32 v[2:3], v[2:3], v[26:27]
	s_wait_dscnt 0x0
	v_mul_f64_e32 v[6:7], v[50:51], v[54:55]
	v_mul_f64_e32 v[26:27], v[48:49], v[54:55]
	v_fma_f64 v[46:47], v[34:35], v[38:39], -v[60:61]
	v_fmac_f64_e32 v[62:63], v[36:37], v[38:39]
	v_add_f64_e32 v[54:55], v[0:1], v[40:41]
	v_add_f64_e32 v[56:57], v[2:3], v[58:59]
	ds_load_b128 v[0:3], v4 offset:2048
	ds_load_b128 v[34:37], v5 offset:64
	;; [unrolled: 1-line block ×4, first 2 shown]
	v_fma_f64 v[6:7], v[48:49], v[52:53], -v[6:7]
	v_fmac_f64_e32 v[26:27], v[50:51], v[52:53]
	s_wait_dscnt 0x2
	v_mul_f64_e32 v[58:59], v[2:3], v[36:37]
	v_mul_f64_e32 v[60:61], v[0:1], v[36:37]
	s_wait_dscnt 0x0
	v_mul_f64_e32 v[52:53], v[40:41], v[44:45]
	v_add_f64_e32 v[36:37], v[54:55], v[46:47]
	v_add_f64_e32 v[46:47], v[56:57], v[62:63]
	v_mul_f64_e32 v[54:55], v[38:39], v[44:45]
	v_fma_f64 v[56:57], v[0:1], v[34:35], -v[58:59]
	v_fmac_f64_e32 v[60:61], v[2:3], v[34:35]
	v_fma_f64 v[38:39], v[38:39], v[42:43], -v[52:53]
	v_add_f64_e32 v[6:7], v[36:37], v[6:7]
	v_add_f64_e32 v[26:27], v[46:47], v[26:27]
	ds_load_b128 v[0:3], v4 offset:3072
	ds_load_b128 v[34:37], v5 offset:96
	;; [unrolled: 1-line block ×4, first 2 shown]
	v_fmac_f64_e32 v[54:55], v[40:41], v[42:43]
	v_add_nc_u32_e32 v4, 0x1000, v4
	s_wait_dscnt 0x2
	v_mul_f64_e32 v[58:59], v[2:3], v[36:37]
	v_mul_f64_e32 v[36:37], v[0:1], v[36:37]
	s_wait_dscnt 0x0
	v_mul_f64_e32 v[40:41], v[46:47], v[50:51]
	v_mul_f64_e32 v[42:43], v[44:45], v[50:51]
	v_add_f64_e32 v[6:7], v[6:7], v[56:57]
	v_add_f64_e32 v[26:27], v[26:27], v[60:61]
	v_fma_f64 v[0:1], v[0:1], v[34:35], -v[58:59]
	v_fmac_f64_e32 v[36:37], v[2:3], v[34:35]
	v_fmac_f64_e32 v[42:43], v[46:47], v[48:49]
	v_add_f64_e32 v[2:3], v[6:7], v[38:39]
	v_add_f64_e32 v[6:7], v[26:27], v[54:55]
	v_fma_f64 v[26:27], v[44:45], v[48:49], -v[40:41]
	s_delay_alu instid0(VALU_DEP_3) | instskip(NEXT) | instid1(VALU_DEP_3)
	v_add_f64_e32 v[0:1], v[2:3], v[0:1]
	v_add_f64_e32 v[2:3], v[6:7], v[36:37]
	s_delay_alu instid0(VALU_DEP_2) | instskip(NEXT) | instid1(VALU_DEP_2)
	v_add_f64_e32 v[0:1], v[0:1], v[26:27]
	v_add_f64_e32 v[2:3], v[2:3], v[42:43]
	s_cbranch_scc0 .LBB29_24
; %bb.25:                               ;   in Loop: Header=BB29_10 Depth=3
	global_load_b128 v[4:7], v[24:25], off
	v_mul_f64_e32 v[26:27], s[30:31], v[2:3]
	v_mul_f64_e32 v[34:35], s[30:31], v[0:1]
	s_delay_alu instid0(VALU_DEP_2) | instskip(NEXT) | instid1(VALU_DEP_2)
	v_fma_f64 v[0:1], s[28:29], v[0:1], -v[26:27]
	v_fmac_f64_e32 v[34:35], s[28:29], v[2:3]
	s_wait_loadcnt 0x0
	s_delay_alu instid0(VALU_DEP_2) | instskip(NEXT) | instid1(VALU_DEP_2)
	v_add_f64_e32 v[0:1], v[0:1], v[4:5]
	v_add_f64_e32 v[2:3], v[34:35], v[6:7]
	global_store_b128 v[24:25], v[0:3], off
	s_branch .LBB29_9
.LBB29_26:
	s_endpgm
	.section	.rodata,"a",@progbits
	.p2align	6, 0x0
	.amdhsa_kernel _ZL24rocblas_symm_hemm_kernelILb1ELb1ELi32EPK19rocblas_complex_numIdES3_PS1_EvbiiT2_T3_lllS6_lllT4_llli
		.amdhsa_group_segment_fixed_size 32768
		.amdhsa_private_segment_fixed_size 0
		.amdhsa_kernarg_size 384
		.amdhsa_user_sgpr_count 2
		.amdhsa_user_sgpr_dispatch_ptr 0
		.amdhsa_user_sgpr_queue_ptr 0
		.amdhsa_user_sgpr_kernarg_segment_ptr 1
		.amdhsa_user_sgpr_dispatch_id 0
		.amdhsa_user_sgpr_kernarg_preload_length 0
		.amdhsa_user_sgpr_kernarg_preload_offset 0
		.amdhsa_user_sgpr_private_segment_size 0
		.amdhsa_wavefront_size32 1
		.amdhsa_uses_dynamic_stack 0
		.amdhsa_enable_private_segment 0
		.amdhsa_system_sgpr_workgroup_id_x 1
		.amdhsa_system_sgpr_workgroup_id_y 1
		.amdhsa_system_sgpr_workgroup_id_z 1
		.amdhsa_system_sgpr_workgroup_info 0
		.amdhsa_system_vgpr_workitem_id 1
		.amdhsa_next_free_vgpr 64
		.amdhsa_next_free_sgpr 43
		.amdhsa_named_barrier_count 0
		.amdhsa_reserve_vcc 1
		.amdhsa_float_round_mode_32 0
		.amdhsa_float_round_mode_16_64 0
		.amdhsa_float_denorm_mode_32 3
		.amdhsa_float_denorm_mode_16_64 3
		.amdhsa_fp16_overflow 0
		.amdhsa_memory_ordered 1
		.amdhsa_forward_progress 1
		.amdhsa_inst_pref_size 12
		.amdhsa_round_robin_scheduling 0
		.amdhsa_exception_fp_ieee_invalid_op 0
		.amdhsa_exception_fp_denorm_src 0
		.amdhsa_exception_fp_ieee_div_zero 0
		.amdhsa_exception_fp_ieee_overflow 0
		.amdhsa_exception_fp_ieee_underflow 0
		.amdhsa_exception_fp_ieee_inexact 0
		.amdhsa_exception_int_div_zero 0
	.end_amdhsa_kernel
	.section	.text._ZL24rocblas_symm_hemm_kernelILb1ELb1ELi32EPK19rocblas_complex_numIdES3_PS1_EvbiiT2_T3_lllS6_lllT4_llli,"axG",@progbits,_ZL24rocblas_symm_hemm_kernelILb1ELb1ELi32EPK19rocblas_complex_numIdES3_PS1_EvbiiT2_T3_lllS6_lllT4_llli,comdat
.Lfunc_end29:
	.size	_ZL24rocblas_symm_hemm_kernelILb1ELb1ELi32EPK19rocblas_complex_numIdES3_PS1_EvbiiT2_T3_lllS6_lllT4_llli, .Lfunc_end29-_ZL24rocblas_symm_hemm_kernelILb1ELb1ELi32EPK19rocblas_complex_numIdES3_PS1_EvbiiT2_T3_lllS6_lllT4_llli
                                        ; -- End function
	.set _ZL24rocblas_symm_hemm_kernelILb1ELb1ELi32EPK19rocblas_complex_numIdES3_PS1_EvbiiT2_T3_lllS6_lllT4_llli.num_vgpr, 64
	.set _ZL24rocblas_symm_hemm_kernelILb1ELb1ELi32EPK19rocblas_complex_numIdES3_PS1_EvbiiT2_T3_lllS6_lllT4_llli.num_agpr, 0
	.set _ZL24rocblas_symm_hemm_kernelILb1ELb1ELi32EPK19rocblas_complex_numIdES3_PS1_EvbiiT2_T3_lllS6_lllT4_llli.numbered_sgpr, 43
	.set _ZL24rocblas_symm_hemm_kernelILb1ELb1ELi32EPK19rocblas_complex_numIdES3_PS1_EvbiiT2_T3_lllS6_lllT4_llli.num_named_barrier, 0
	.set _ZL24rocblas_symm_hemm_kernelILb1ELb1ELi32EPK19rocblas_complex_numIdES3_PS1_EvbiiT2_T3_lllS6_lllT4_llli.private_seg_size, 0
	.set _ZL24rocblas_symm_hemm_kernelILb1ELb1ELi32EPK19rocblas_complex_numIdES3_PS1_EvbiiT2_T3_lllS6_lllT4_llli.uses_vcc, 1
	.set _ZL24rocblas_symm_hemm_kernelILb1ELb1ELi32EPK19rocblas_complex_numIdES3_PS1_EvbiiT2_T3_lllS6_lllT4_llli.uses_flat_scratch, 0
	.set _ZL24rocblas_symm_hemm_kernelILb1ELb1ELi32EPK19rocblas_complex_numIdES3_PS1_EvbiiT2_T3_lllS6_lllT4_llli.has_dyn_sized_stack, 0
	.set _ZL24rocblas_symm_hemm_kernelILb1ELb1ELi32EPK19rocblas_complex_numIdES3_PS1_EvbiiT2_T3_lllS6_lllT4_llli.has_recursion, 0
	.set _ZL24rocblas_symm_hemm_kernelILb1ELb1ELi32EPK19rocblas_complex_numIdES3_PS1_EvbiiT2_T3_lllS6_lllT4_llli.has_indirect_call, 0
	.section	.AMDGPU.csdata,"",@progbits
; Kernel info:
; codeLenInByte = 1492
; TotalNumSgprs: 45
; NumVgprs: 64
; ScratchSize: 0
; MemoryBound: 1
; FloatMode: 240
; IeeeMode: 1
; LDSByteSize: 32768 bytes/workgroup (compile time only)
; SGPRBlocks: 0
; VGPRBlocks: 3
; NumSGPRsForWavesPerEU: 45
; NumVGPRsForWavesPerEU: 64
; NamedBarCnt: 0
; Occupancy: 16
; WaveLimiterHint : 1
; COMPUTE_PGM_RSRC2:SCRATCH_EN: 0
; COMPUTE_PGM_RSRC2:USER_SGPR: 2
; COMPUTE_PGM_RSRC2:TRAP_HANDLER: 0
; COMPUTE_PGM_RSRC2:TGID_X_EN: 1
; COMPUTE_PGM_RSRC2:TGID_Y_EN: 1
; COMPUTE_PGM_RSRC2:TGID_Z_EN: 1
; COMPUTE_PGM_RSRC2:TIDIG_COMP_CNT: 1
	.section	.text._ZL24rocblas_symm_hemm_kernelILb1ELb0ELi32E19rocblas_complex_numIdEPKS1_PS1_EvbiiT2_T3_lllS6_lllT4_llli,"axG",@progbits,_ZL24rocblas_symm_hemm_kernelILb1ELb0ELi32E19rocblas_complex_numIdEPKS1_PS1_EvbiiT2_T3_lllS6_lllT4_llli,comdat
	.globl	_ZL24rocblas_symm_hemm_kernelILb1ELb0ELi32E19rocblas_complex_numIdEPKS1_PS1_EvbiiT2_T3_lllS6_lllT4_llli ; -- Begin function _ZL24rocblas_symm_hemm_kernelILb1ELb0ELi32E19rocblas_complex_numIdEPKS1_PS1_EvbiiT2_T3_lllS6_lllT4_llli
	.p2align	8
	.type	_ZL24rocblas_symm_hemm_kernelILb1ELb0ELi32E19rocblas_complex_numIdEPKS1_PS1_EvbiiT2_T3_lllS6_lllT4_llli,@function
_ZL24rocblas_symm_hemm_kernelILb1ELb0ELi32E19rocblas_complex_numIdEPKS1_PS1_EvbiiT2_T3_lllS6_lllT4_llli: ; @_ZL24rocblas_symm_hemm_kernelILb1ELb0ELi32E19rocblas_complex_numIdEPKS1_PS1_EvbiiT2_T3_lllS6_lllT4_llli
; %bb.0:
	s_load_b512 s[4:19], s[0:1], 0x10
	s_wait_kmcnt 0x0
	v_cmp_eq_f64_e64 s2, s[4:5], 0
	v_cmp_eq_f64_e64 s3, s[6:7], 0
	s_and_b32 s2, s2, s3
	s_delay_alu instid0(SALU_CYCLE_1)
	s_and_b32 vcc_lo, exec_lo, s2
	s_cbranch_vccnz .LBB30_26
; %bb.1:
	s_load_b32 s33, s[0:1], 0x80
	s_bfe_u32 s2, ttmp6, 0x40014
	s_lshr_b32 s20, ttmp7, 16
	s_add_co_i32 s2, s2, 1
	s_bfe_u32 s21, ttmp6, 0x40008
	s_mul_i32 s2, s20, s2
	s_getreg_b32 s3, hwreg(HW_REG_IB_STS2, 6, 4)
	s_add_co_i32 s21, s21, s2
	s_cmp_eq_u32 s3, 0
	s_mov_b32 s35, 0
	s_cselect_b32 s34, s20, s21
	s_wait_kmcnt 0x0
	s_cmp_ge_u32 s34, s33
	s_cbranch_scc1 .LBB30_26
; %bb.2:
	s_clause 0x1
	s_load_b96 s[36:38], s[0:1], 0x0
	s_load_b256 s[20:27], s[0:1], 0x50
	s_lshl_b64 s[18:19], s[18:19], 4
	s_lshl_b64 s[40:41], s[10:11], 4
	v_and_b32_e32 v26, 0x3ff, v0
	v_bfe_u32 v27, v0, 10, 10
	s_add_nc_u64 s[8:9], s[8:9], s[40:41]
	s_delay_alu instid0(VALU_DEP_1) | instskip(NEXT) | instid1(VALU_DEP_1)
	v_dual_lshlrev_b32 v28, 9, v26 :: v_dual_lshlrev_b32 v0, 4, v27
	v_or_b32_e32 v29, 0x4000, v0
	s_delay_alu instid0(VALU_DEP_2)
	v_add_nc_u32_e32 v30, v28, v0
	s_wait_kmcnt 0x0
	s_bitcmp1_b32 s36, 0
	s_cselect_b32 s2, -1, 0
	s_lshl_b64 s[10:11], s[26:27], 4
	s_add_co_i32 s26, s38, -1
	s_bfe_u32 s28, ttmp6, 0x4000c
	s_bfe_u32 s29, ttmp6, 0x40010
	s_ashr_i32 s31, s26, 31
	s_and_b32 s36, ttmp7, 0xffff
	s_add_co_i32 s28, s28, 1
	s_add_co_i32 s29, s29, 1
	s_lshr_b32 s31, s31, 27
	s_and_b32 s27, ttmp6, 15
	s_bfe_u32 s30, ttmp6, 0x40004
	s_mul_i32 s28, ttmp9, s28
	s_mul_i32 s29, s36, s29
	s_add_co_i32 s26, s26, s31
	s_add_co_i32 s27, s27, s28
	;; [unrolled: 1-line block ×3, first 2 shown]
	s_ashr_i32 s26, s26, 5
	s_cmp_eq_u32 s3, 0
	s_load_b128 s[28:31], s[0:1], 0x70
	s_cselect_b32 s3, ttmp9, s27
	s_cselect_b32 s27, s36, s39
	v_lshl_add_u32 v8, s3, 5, v26
	s_add_nc_u64 s[10:11], s[24:25], s[10:11]
	s_cmp_le_i32 s27, s26
	s_cselect_b32 s24, -1, 0
	s_delay_alu instid0(VALU_DEP_1)
	v_ashrrev_i32_e32 v9, 31, v8
	v_cmp_gt_i32_e64 s3, s37, v8
	s_cmp_gt_i32 s37, 0
	s_cselect_b32 s25, -1, 0
	v_mul_u64_e32 v[2:3], s[12:13], v[8:9]
	v_lshl_add_u64 v[10:11], v[8:9], 4, s[10:11]
	s_add_nc_u64 s[10:11], s[16:17], s[18:19]
	s_add_nc_u64 s[16:17], s[0:1], 0x88
	s_delay_alu instid0(VALU_DEP_2)
	v_lshlrev_b64_e32 v[12:13], 4, v[2:3]
	s_branch .LBB30_4
.LBB30_3:                               ;   in Loop: Header=BB30_4 Depth=1
	s_add_co_i32 s34, s34, 0x10000
	s_delay_alu instid0(SALU_CYCLE_1)
	s_cmp_lt_u32 s34, s33
	s_cbranch_scc0 .LBB30_26
.LBB30_4:                               ; =>This Loop Header: Depth=1
                                        ;     Child Loop BB30_7 Depth 2
                                        ;       Child Loop BB30_10 Depth 3
                                        ;         Child Loop BB30_24 Depth 4
	s_and_not1_b32 vcc_lo, exec_lo, s24
	s_cbranch_vccnz .LBB30_3
; %bb.5:                                ;   in Loop: Header=BB30_4 Depth=1
	s_load_b32 s36, s[16:17], 0x4
	s_wait_xcnt 0x0
	s_mul_u64 s[0:1], s[14:15], s[34:35]
	s_wait_kmcnt 0x0
	s_mul_u64 s[40:41], s[30:31], s[34:35]
	s_lshl_b64 s[0:1], s[0:1], 4
	s_mul_u64 s[18:19], s[22:23], s[34:35]
	s_add_nc_u64 s[0:1], s[8:9], s[0:1]
	v_lshl_add_u64 v[18:19], s[40:41], 4, v[10:11]
	v_add_nc_u64_e32 v[16:17], s[0:1], v[12:13]
	v_lshl_add_u64 v[14:15], v[8:9], 4, s[0:1]
	s_lshl_b64 s[0:1], s[18:19], 4
	s_mov_b32 s39, s27
	s_add_nc_u64 s[18:19], s[10:11], s[0:1]
	s_branch .LBB30_7
.LBB30_6:                               ;   in Loop: Header=BB30_7 Depth=2
	s_add_co_i32 s39, s39, s36
	s_delay_alu instid0(SALU_CYCLE_1)
	s_cmp_gt_i32 s39, s26
	s_cbranch_scc1 .LBB30_3
.LBB30_7:                               ;   Parent Loop BB30_4 Depth=1
                                        ; =>  This Loop Header: Depth=2
                                        ;       Child Loop BB30_10 Depth 3
                                        ;         Child Loop BB30_24 Depth 4
	s_and_not1_b32 vcc_lo, exec_lo, s25
	s_cbranch_vccnz .LBB30_6
; %bb.8:                                ;   in Loop: Header=BB30_7 Depth=2
	v_lshl_add_u32 v0, s39, 5, v27
	s_mov_b32 s41, 0
	s_delay_alu instid0(VALU_DEP_1) | instskip(SKIP_1) | instid1(VALU_DEP_2)
	v_ashrrev_i32_e32 v1, 31, v0
	v_cmp_gt_i32_e32 vcc_lo, s38, v0
	v_mul_u64_e32 v[2:3], s[20:21], v[0:1]
	v_mul_u64_e32 v[4:5], s[28:29], v[0:1]
	s_and_b32 s40, s3, vcc_lo
	s_delay_alu instid0(VALU_DEP_2) | instskip(NEXT) | instid1(VALU_DEP_2)
	v_lshl_add_u64 v[20:21], v[2:3], 4, s[18:19]
	v_lshl_add_u64 v[22:23], v[4:5], 4, v[18:19]
	s_branch .LBB30_10
.LBB30_9:                               ;   in Loop: Header=BB30_10 Depth=3
	s_wait_xcnt 0x0
	s_or_b32 exec_lo, exec_lo, s0
	s_add_co_i32 s41, s41, 32
	s_wait_storecnt 0x0
	s_cmp_ge_i32 s41, s37
	s_barrier_signal -1
	s_barrier_wait -1
	s_cbranch_scc1 .LBB30_6
.LBB30_10:                              ;   Parent Loop BB30_4 Depth=1
                                        ;     Parent Loop BB30_7 Depth=2
                                        ; =>    This Loop Header: Depth=3
                                        ;         Child Loop BB30_24 Depth 4
	v_add_nc_u32_e32 v2, s41, v27
	v_mov_b64_e32 v[4:5], 0
	v_mov_b64_e32 v[6:7], 0
	s_mov_b32 s42, exec_lo
	s_delay_alu instid0(VALU_DEP_3) | instskip(NEXT) | instid1(VALU_DEP_1)
	v_dual_cndmask_b32 v3, v2, v8, s2 :: v_dual_cndmask_b32 v24, v8, v2, s2
	v_cmp_gt_i32_e64 s0, v3, v24
	s_delay_alu instid0(VALU_DEP_1) | instskip(SKIP_1) | instid1(VALU_DEP_2)
	v_dual_cndmask_b32 v0, v8, v2, s0 :: v_dual_cndmask_b32 v1, v2, v8, s0
	v_cmp_le_i32_e64 s0, v3, v24
	v_max_i32_e32 v25, v0, v1
	v_mov_b64_e32 v[0:1], 0
	s_delay_alu instid0(VALU_DEP_2)
	v_cmpx_gt_i32_e64 s37, v25
	s_cbranch_execz .LBB30_20
; %bb.11:                               ;   in Loop: Header=BB30_10 Depth=3
                                        ; implicit-def: $vgpr6_vgpr7
	s_and_saveexec_b32 s1, s0
	s_delay_alu instid0(SALU_CYCLE_1)
	s_xor_b32 s1, exec_lo, s1
	s_cbranch_execz .LBB30_17
; %bb.12:                               ;   in Loop: Header=BB30_10 Depth=3
	v_cmp_ne_u32_e64 s0, v8, v2
                                        ; implicit-def: $vgpr6_vgpr7
	s_and_saveexec_b32 s43, s0
	s_delay_alu instid0(SALU_CYCLE_1)
	s_xor_b32 s0, exec_lo, s43
	s_cbranch_execz .LBB30_14
; %bb.13:                               ;   in Loop: Header=BB30_10 Depth=3
	v_ashrrev_i32_e32 v3, 31, v2
	s_delay_alu instid0(VALU_DEP_1) | instskip(NEXT) | instid1(VALU_DEP_1)
	v_mul_u64_e32 v[2:3], s[12:13], v[2:3]
	v_lshl_add_u64 v[2:3], v[2:3], 4, v[14:15]
	global_load_b128 v[4:7], v[2:3], off
.LBB30_14:                              ;   in Loop: Header=BB30_10 Depth=3
	s_wait_xcnt 0x0
	s_and_not1_saveexec_b32 s0, s0
	s_cbranch_execz .LBB30_16
; %bb.15:                               ;   in Loop: Header=BB30_10 Depth=3
	v_add_nc_u64_e32 v[2:3], v[14:15], v[12:13]
	s_wait_loadcnt 0x0
	v_mov_b64_e32 v[6:7], 0
	global_load_b64 v[4:5], v[2:3], off
.LBB30_16:                              ;   in Loop: Header=BB30_10 Depth=3
	s_wait_xcnt 0x0
	s_or_b32 exec_lo, exec_lo, s0
                                        ; implicit-def: $vgpr2
.LBB30_17:                              ;   in Loop: Header=BB30_10 Depth=3
	s_and_not1_saveexec_b32 s0, s1
	s_cbranch_execz .LBB30_19
; %bb.18:                               ;   in Loop: Header=BB30_10 Depth=3
	v_ashrrev_i32_e32 v3, 31, v2
	s_delay_alu instid0(VALU_DEP_1)
	v_lshl_add_u64 v[2:3], v[2:3], 4, v[16:17]
	s_wait_loadcnt 0x0
	global_load_b128 v[4:7], v[2:3], off
	s_wait_loadcnt 0x0
	v_xor_b32_e32 v7, 0x80000000, v7
.LBB30_19:                              ;   in Loop: Header=BB30_10 Depth=3
	s_or_b32 exec_lo, exec_lo, s0
.LBB30_20:                              ;   in Loop: Header=BB30_10 Depth=3
	s_delay_alu instid0(SALU_CYCLE_1)
	s_or_b32 exec_lo, exec_lo, s42
	v_add_nc_u32_e32 v24, s41, v26
	v_mov_b64_e32 v[2:3], 0
	s_wait_loadcnt 0x0
	ds_store_b128 v30, v[4:7]
	v_cmp_gt_i32_e64 s0, s37, v24
	s_and_b32 s1, s0, vcc_lo
	s_delay_alu instid0(SALU_CYCLE_1)
	s_and_saveexec_b32 s0, s1
	s_cbranch_execz .LBB30_22
; %bb.21:                               ;   in Loop: Header=BB30_10 Depth=3
	v_ashrrev_i32_e32 v25, 31, v24
	s_delay_alu instid0(VALU_DEP_1)
	v_lshl_add_u64 v[0:1], v[24:25], 4, v[20:21]
	global_load_b128 v[0:3], v[0:1], off
.LBB30_22:                              ;   in Loop: Header=BB30_10 Depth=3
	s_wait_xcnt 0x0
	s_or_b32 exec_lo, exec_lo, s0
	v_add_nc_u32_e32 v4, v29, v28
	s_wait_loadcnt 0x0
	ds_store_b128 v4, v[0:3]
	s_wait_dscnt 0x0
	s_barrier_signal -1
	s_barrier_wait -1
	s_and_saveexec_b32 s0, s40
	s_cbranch_execz .LBB30_9
; %bb.23:                               ;   in Loop: Header=BB30_10 Depth=3
	v_mov_b64_e32 v[0:1], 0
	v_mov_b64_e32 v[2:3], 0
	v_mov_b32_e32 v4, v29
	s_mov_b32 s1, 0
.LBB30_24:                              ;   Parent Loop BB30_4 Depth=1
                                        ;     Parent Loop BB30_7 Depth=2
                                        ;       Parent Loop BB30_10 Depth=3
                                        ; =>      This Inner Loop Header: Depth=4
	s_delay_alu instid0(SALU_CYCLE_1)
	v_add_nc_u32_e32 v5, s1, v28
	s_addk_co_i32 s1, 0x80
	ds_load_b128 v[32:35], v4
	ds_load_b128 v[36:39], v5
	ds_load_b128 v[40:43], v4 offset:512
	ds_load_b128 v[44:47], v5 offset:16
	s_cmp_eq_u32 s1, 0x200
	s_wait_dscnt 0x2
	v_mul_f64_e32 v[6:7], v[34:35], v[38:39]
	v_mul_f64_e32 v[24:25], v[32:33], v[38:39]
	s_wait_dscnt 0x0
	v_mul_f64_e32 v[54:55], v[42:43], v[46:47]
	v_mul_f64_e32 v[56:57], v[40:41], v[46:47]
	s_delay_alu instid0(VALU_DEP_4) | instskip(NEXT) | instid1(VALU_DEP_4)
	v_fma_f64 v[6:7], v[32:33], v[36:37], -v[6:7]
	v_fmac_f64_e32 v[24:25], v[34:35], v[36:37]
	ds_load_b128 v[32:35], v4 offset:1024
	ds_load_b128 v[36:39], v5 offset:32
	;; [unrolled: 1-line block ×4, first 2 shown]
	v_fmac_f64_e32 v[56:57], v[42:43], v[44:45]
	s_wait_dscnt 0x2
	v_mul_f64_e32 v[58:59], v[34:35], v[38:39]
	v_mul_f64_e32 v[60:61], v[32:33], v[38:39]
	v_fma_f64 v[38:39], v[40:41], v[44:45], -v[54:55]
	v_add_f64_e32 v[0:1], v[0:1], v[6:7]
	v_add_f64_e32 v[2:3], v[2:3], v[24:25]
	s_wait_dscnt 0x0
	v_mul_f64_e32 v[6:7], v[48:49], v[52:53]
	v_mul_f64_e32 v[24:25], v[46:47], v[52:53]
	v_fma_f64 v[44:45], v[32:33], v[36:37], -v[58:59]
	v_fmac_f64_e32 v[60:61], v[34:35], v[36:37]
	v_add_f64_e32 v[52:53], v[0:1], v[38:39]
	v_add_f64_e32 v[54:55], v[2:3], v[56:57]
	ds_load_b128 v[0:3], v4 offset:2048
	ds_load_b128 v[32:35], v5 offset:64
	;; [unrolled: 1-line block ×4, first 2 shown]
	v_fma_f64 v[6:7], v[46:47], v[50:51], -v[6:7]
	v_fmac_f64_e32 v[24:25], v[48:49], v[50:51]
	s_wait_dscnt 0x2
	v_mul_f64_e32 v[56:57], v[2:3], v[34:35]
	v_mul_f64_e32 v[58:59], v[0:1], v[34:35]
	s_wait_dscnt 0x0
	v_mul_f64_e32 v[50:51], v[38:39], v[42:43]
	v_add_f64_e32 v[34:35], v[52:53], v[44:45]
	v_add_f64_e32 v[44:45], v[54:55], v[60:61]
	v_mul_f64_e32 v[52:53], v[36:37], v[42:43]
	v_fma_f64 v[54:55], v[0:1], v[32:33], -v[56:57]
	v_fmac_f64_e32 v[58:59], v[2:3], v[32:33]
	v_fma_f64 v[36:37], v[36:37], v[40:41], -v[50:51]
	v_add_f64_e32 v[6:7], v[34:35], v[6:7]
	v_add_f64_e32 v[24:25], v[44:45], v[24:25]
	ds_load_b128 v[0:3], v4 offset:3072
	ds_load_b128 v[32:35], v5 offset:96
	;; [unrolled: 1-line block ×4, first 2 shown]
	v_fmac_f64_e32 v[52:53], v[38:39], v[40:41]
	v_add_nc_u32_e32 v4, 0x1000, v4
	s_wait_dscnt 0x2
	v_mul_f64_e32 v[56:57], v[2:3], v[34:35]
	v_mul_f64_e32 v[34:35], v[0:1], v[34:35]
	s_wait_dscnt 0x0
	v_mul_f64_e32 v[38:39], v[44:45], v[48:49]
	v_mul_f64_e32 v[40:41], v[42:43], v[48:49]
	v_add_f64_e32 v[6:7], v[6:7], v[54:55]
	v_add_f64_e32 v[24:25], v[24:25], v[58:59]
	v_fma_f64 v[0:1], v[0:1], v[32:33], -v[56:57]
	v_fmac_f64_e32 v[34:35], v[2:3], v[32:33]
	v_fmac_f64_e32 v[40:41], v[44:45], v[46:47]
	v_add_f64_e32 v[2:3], v[6:7], v[36:37]
	v_add_f64_e32 v[6:7], v[24:25], v[52:53]
	v_fma_f64 v[24:25], v[42:43], v[46:47], -v[38:39]
	s_delay_alu instid0(VALU_DEP_3) | instskip(NEXT) | instid1(VALU_DEP_3)
	v_add_f64_e32 v[0:1], v[2:3], v[0:1]
	v_add_f64_e32 v[2:3], v[6:7], v[34:35]
	s_delay_alu instid0(VALU_DEP_2) | instskip(NEXT) | instid1(VALU_DEP_2)
	v_add_f64_e32 v[0:1], v[0:1], v[24:25]
	v_add_f64_e32 v[2:3], v[2:3], v[40:41]
	s_cbranch_scc0 .LBB30_24
; %bb.25:                               ;   in Loop: Header=BB30_10 Depth=3
	global_load_b128 v[4:7], v[22:23], off
	v_mul_f64_e32 v[24:25], s[6:7], v[2:3]
	v_mul_f64_e32 v[32:33], s[6:7], v[0:1]
	s_delay_alu instid0(VALU_DEP_2) | instskip(NEXT) | instid1(VALU_DEP_2)
	v_fma_f64 v[0:1], s[4:5], v[0:1], -v[24:25]
	v_fmac_f64_e32 v[32:33], s[4:5], v[2:3]
	s_wait_loadcnt 0x0
	s_delay_alu instid0(VALU_DEP_2) | instskip(NEXT) | instid1(VALU_DEP_2)
	v_add_f64_e32 v[0:1], v[0:1], v[4:5]
	v_add_f64_e32 v[2:3], v[32:33], v[6:7]
	global_store_b128 v[22:23], v[0:3], off
	s_branch .LBB30_9
.LBB30_26:
	s_endpgm
	.section	.rodata,"a",@progbits
	.p2align	6, 0x0
	.amdhsa_kernel _ZL24rocblas_symm_hemm_kernelILb1ELb0ELi32E19rocblas_complex_numIdEPKS1_PS1_EvbiiT2_T3_lllS6_lllT4_llli
		.amdhsa_group_segment_fixed_size 32768
		.amdhsa_private_segment_fixed_size 0
		.amdhsa_kernarg_size 392
		.amdhsa_user_sgpr_count 2
		.amdhsa_user_sgpr_dispatch_ptr 0
		.amdhsa_user_sgpr_queue_ptr 0
		.amdhsa_user_sgpr_kernarg_segment_ptr 1
		.amdhsa_user_sgpr_dispatch_id 0
		.amdhsa_user_sgpr_kernarg_preload_length 0
		.amdhsa_user_sgpr_kernarg_preload_offset 0
		.amdhsa_user_sgpr_private_segment_size 0
		.amdhsa_wavefront_size32 1
		.amdhsa_uses_dynamic_stack 0
		.amdhsa_enable_private_segment 0
		.amdhsa_system_sgpr_workgroup_id_x 1
		.amdhsa_system_sgpr_workgroup_id_y 1
		.amdhsa_system_sgpr_workgroup_id_z 1
		.amdhsa_system_sgpr_workgroup_info 0
		.amdhsa_system_vgpr_workitem_id 1
		.amdhsa_next_free_vgpr 62
		.amdhsa_next_free_sgpr 44
		.amdhsa_named_barrier_count 0
		.amdhsa_reserve_vcc 1
		.amdhsa_float_round_mode_32 0
		.amdhsa_float_round_mode_16_64 0
		.amdhsa_float_denorm_mode_32 3
		.amdhsa_float_denorm_mode_16_64 3
		.amdhsa_fp16_overflow 0
		.amdhsa_memory_ordered 1
		.amdhsa_forward_progress 1
		.amdhsa_inst_pref_size 12
		.amdhsa_round_robin_scheduling 0
		.amdhsa_exception_fp_ieee_invalid_op 0
		.amdhsa_exception_fp_denorm_src 0
		.amdhsa_exception_fp_ieee_div_zero 0
		.amdhsa_exception_fp_ieee_overflow 0
		.amdhsa_exception_fp_ieee_underflow 0
		.amdhsa_exception_fp_ieee_inexact 0
		.amdhsa_exception_int_div_zero 0
	.end_amdhsa_kernel
	.section	.text._ZL24rocblas_symm_hemm_kernelILb1ELb0ELi32E19rocblas_complex_numIdEPKS1_PS1_EvbiiT2_T3_lllS6_lllT4_llli,"axG",@progbits,_ZL24rocblas_symm_hemm_kernelILb1ELb0ELi32E19rocblas_complex_numIdEPKS1_PS1_EvbiiT2_T3_lllS6_lllT4_llli,comdat
.Lfunc_end30:
	.size	_ZL24rocblas_symm_hemm_kernelILb1ELb0ELi32E19rocblas_complex_numIdEPKS1_PS1_EvbiiT2_T3_lllS6_lllT4_llli, .Lfunc_end30-_ZL24rocblas_symm_hemm_kernelILb1ELb0ELi32E19rocblas_complex_numIdEPKS1_PS1_EvbiiT2_T3_lllS6_lllT4_llli
                                        ; -- End function
	.set _ZL24rocblas_symm_hemm_kernelILb1ELb0ELi32E19rocblas_complex_numIdEPKS1_PS1_EvbiiT2_T3_lllS6_lllT4_llli.num_vgpr, 62
	.set _ZL24rocblas_symm_hemm_kernelILb1ELb0ELi32E19rocblas_complex_numIdEPKS1_PS1_EvbiiT2_T3_lllS6_lllT4_llli.num_agpr, 0
	.set _ZL24rocblas_symm_hemm_kernelILb1ELb0ELi32E19rocblas_complex_numIdEPKS1_PS1_EvbiiT2_T3_lllS6_lllT4_llli.numbered_sgpr, 44
	.set _ZL24rocblas_symm_hemm_kernelILb1ELb0ELi32E19rocblas_complex_numIdEPKS1_PS1_EvbiiT2_T3_lllS6_lllT4_llli.num_named_barrier, 0
	.set _ZL24rocblas_symm_hemm_kernelILb1ELb0ELi32E19rocblas_complex_numIdEPKS1_PS1_EvbiiT2_T3_lllS6_lllT4_llli.private_seg_size, 0
	.set _ZL24rocblas_symm_hemm_kernelILb1ELb0ELi32E19rocblas_complex_numIdEPKS1_PS1_EvbiiT2_T3_lllS6_lllT4_llli.uses_vcc, 1
	.set _ZL24rocblas_symm_hemm_kernelILb1ELb0ELi32E19rocblas_complex_numIdEPKS1_PS1_EvbiiT2_T3_lllS6_lllT4_llli.uses_flat_scratch, 0
	.set _ZL24rocblas_symm_hemm_kernelILb1ELb0ELi32E19rocblas_complex_numIdEPKS1_PS1_EvbiiT2_T3_lllS6_lllT4_llli.has_dyn_sized_stack, 0
	.set _ZL24rocblas_symm_hemm_kernelILb1ELb0ELi32E19rocblas_complex_numIdEPKS1_PS1_EvbiiT2_T3_lllS6_lllT4_llli.has_recursion, 0
	.set _ZL24rocblas_symm_hemm_kernelILb1ELb0ELi32E19rocblas_complex_numIdEPKS1_PS1_EvbiiT2_T3_lllS6_lllT4_llli.has_indirect_call, 0
	.section	.AMDGPU.csdata,"",@progbits
; Kernel info:
; codeLenInByte = 1504
; TotalNumSgprs: 46
; NumVgprs: 62
; ScratchSize: 0
; MemoryBound: 1
; FloatMode: 240
; IeeeMode: 1
; LDSByteSize: 32768 bytes/workgroup (compile time only)
; SGPRBlocks: 0
; VGPRBlocks: 3
; NumSGPRsForWavesPerEU: 46
; NumVGPRsForWavesPerEU: 62
; NamedBarCnt: 0
; Occupancy: 16
; WaveLimiterHint : 1
; COMPUTE_PGM_RSRC2:SCRATCH_EN: 0
; COMPUTE_PGM_RSRC2:USER_SGPR: 2
; COMPUTE_PGM_RSRC2:TRAP_HANDLER: 0
; COMPUTE_PGM_RSRC2:TGID_X_EN: 1
; COMPUTE_PGM_RSRC2:TGID_Y_EN: 1
; COMPUTE_PGM_RSRC2:TGID_Z_EN: 1
; COMPUTE_PGM_RSRC2:TIDIG_COMP_CNT: 1
	.section	.text._ZL24rocblas_symm_hemm_kernelILb1ELb1ELi32E19rocblas_complex_numIdEPKS1_PS1_EvbiiT2_T3_lllS6_lllT4_llli,"axG",@progbits,_ZL24rocblas_symm_hemm_kernelILb1ELb1ELi32E19rocblas_complex_numIdEPKS1_PS1_EvbiiT2_T3_lllS6_lllT4_llli,comdat
	.globl	_ZL24rocblas_symm_hemm_kernelILb1ELb1ELi32E19rocblas_complex_numIdEPKS1_PS1_EvbiiT2_T3_lllS6_lllT4_llli ; -- Begin function _ZL24rocblas_symm_hemm_kernelILb1ELb1ELi32E19rocblas_complex_numIdEPKS1_PS1_EvbiiT2_T3_lllS6_lllT4_llli
	.p2align	8
	.type	_ZL24rocblas_symm_hemm_kernelILb1ELb1ELi32E19rocblas_complex_numIdEPKS1_PS1_EvbiiT2_T3_lllS6_lllT4_llli,@function
_ZL24rocblas_symm_hemm_kernelILb1ELb1ELi32E19rocblas_complex_numIdEPKS1_PS1_EvbiiT2_T3_lllS6_lllT4_llli: ; @_ZL24rocblas_symm_hemm_kernelILb1ELb1ELi32E19rocblas_complex_numIdEPKS1_PS1_EvbiiT2_T3_lllS6_lllT4_llli
; %bb.0:
	s_load_b512 s[4:19], s[0:1], 0x10
	s_wait_kmcnt 0x0
	v_cmp_eq_f64_e64 s2, s[4:5], 0
	v_cmp_eq_f64_e64 s3, s[6:7], 0
	s_and_b32 s2, s2, s3
	s_delay_alu instid0(SALU_CYCLE_1)
	s_and_b32 vcc_lo, exec_lo, s2
	s_cbranch_vccnz .LBB31_26
; %bb.1:
	s_load_b32 s33, s[0:1], 0x80
	s_bfe_u32 s2, ttmp6, 0x40014
	s_lshr_b32 s20, ttmp7, 16
	s_add_co_i32 s2, s2, 1
	s_bfe_u32 s21, ttmp6, 0x40008
	s_mul_i32 s2, s20, s2
	s_getreg_b32 s3, hwreg(HW_REG_IB_STS2, 6, 4)
	s_add_co_i32 s21, s21, s2
	s_cmp_eq_u32 s3, 0
	s_mov_b32 s35, 0
	s_cselect_b32 s34, s20, s21
	s_wait_kmcnt 0x0
	s_cmp_ge_u32 s34, s33
	s_cbranch_scc1 .LBB31_26
; %bb.2:
	s_clause 0x1
	s_load_b96 s[36:38], s[0:1], 0x0
	s_load_b256 s[20:27], s[0:1], 0x50
	s_lshl_b64 s[10:11], s[10:11], 4
	v_and_b32_e32 v28, 0x3ff, v0
	v_bfe_u32 v29, v0, 10, 10
	s_add_nc_u64 s[8:9], s[8:9], s[10:11]
	s_add_nc_u64 s[10:11], s[0:1], 0x88
	s_delay_alu instid0(VALU_DEP_1) | instskip(NEXT) | instid1(VALU_DEP_1)
	v_dual_lshlrev_b32 v30, 9, v28 :: v_dual_lshlrev_b32 v2, 4, v29
	v_or_b32_e32 v31, 0x4000, v2
	s_delay_alu instid0(VALU_DEP_2)
	v_add_nc_u32_e32 v32, v30, v2
	s_wait_kmcnt 0x0
	s_bitcmp1_b32 s36, 0
	s_cselect_b32 s2, -1, 0
	s_lshl_b64 s[40:41], s[18:19], 4
	s_add_co_i32 s18, s38, -1
	s_bfe_u32 s28, ttmp6, 0x4000c
	s_bfe_u32 s29, ttmp6, 0x40010
	s_ashr_i32 s31, s18, 31
	s_and_b32 s36, ttmp7, 0xffff
	s_add_co_i32 s28, s28, 1
	s_add_co_i32 s29, s29, 1
	s_lshr_b32 s31, s31, 27
	s_and_b32 s19, ttmp6, 15
	s_bfe_u32 s30, ttmp6, 0x40004
	s_mul_i32 s28, ttmp9, s28
	s_mul_i32 s29, s36, s29
	s_add_co_i32 s18, s18, s31
	s_lshl_b64 s[26:27], s[26:27], 4
	s_add_co_i32 s19, s19, s28
	s_add_co_i32 s39, s30, s29
	s_ashr_i32 s18, s18, 5
	s_cmp_eq_u32 s3, 0
	s_load_b128 s[28:31], s[0:1], 0x70
	s_cselect_b32 s3, ttmp9, s19
	s_add_nc_u64 s[16:17], s[16:17], s[40:41]
	v_lshl_add_u32 v0, s3, 5, v28
	s_add_nc_u64 s[26:27], s[24:25], s[26:27]
	s_cselect_b32 s19, s36, s39
	s_delay_alu instid0(SALU_CYCLE_1) | instskip(NEXT) | instid1(VALU_DEP_1)
	s_cmp_le_i32 s19, s18
	v_ashrrev_i32_e32 v1, 31, v0
	v_cmp_gt_i32_e64 s3, s37, v0
	s_cselect_b32 s24, -1, 0
	s_cmp_gt_i32 s38, 0
	v_lshlrev_b64_e32 v[2:3], 4, v[0:1]
	s_cselect_b32 s25, -1, 0
	s_delay_alu instid0(VALU_DEP_1)
	v_add_nc_u64_e32 v[8:9], s[16:17], v[2:3]
	v_add_nc_u64_e32 v[10:11], s[26:27], v[2:3]
	s_branch .LBB31_4
.LBB31_3:                               ;   in Loop: Header=BB31_4 Depth=1
	s_add_co_i32 s34, s34, 0x10000
	s_delay_alu instid0(SALU_CYCLE_1)
	s_cmp_lt_u32 s34, s33
	s_cbranch_scc0 .LBB31_26
.LBB31_4:                               ; =>This Loop Header: Depth=1
                                        ;     Child Loop BB31_7 Depth 2
                                        ;       Child Loop BB31_10 Depth 3
                                        ;         Child Loop BB31_24 Depth 4
	s_and_not1_b32 vcc_lo, exec_lo, s24
	s_cbranch_vccnz .LBB31_3
; %bb.5:                                ;   in Loop: Header=BB31_4 Depth=1
	s_wait_xcnt 0x0
	s_load_b32 s1, s[10:11], 0x4
	s_mul_u64 s[26:27], s[22:23], s[34:35]
	s_wait_kmcnt 0x0
	s_mul_u64 s[36:37], s[30:31], s[34:35]
	s_mul_u64 s[16:17], s[14:15], s[34:35]
	v_lshl_add_u64 v[12:13], s[26:27], 4, v[8:9]
	v_lshl_add_u64 v[14:15], s[36:37], 4, v[10:11]
	s_lshl_b64 s[16:17], s[16:17], 4
	s_mov_b32 s26, s19
	s_add_nc_u64 s[16:17], s[8:9], s[16:17]
	s_branch .LBB31_7
.LBB31_6:                               ;   in Loop: Header=BB31_7 Depth=2
	s_add_co_i32 s26, s26, s1
	s_delay_alu instid0(SALU_CYCLE_1)
	s_cmp_gt_i32 s26, s18
	s_cbranch_scc1 .LBB31_3
.LBB31_7:                               ;   Parent Loop BB31_4 Depth=1
                                        ; =>  This Loop Header: Depth=2
                                        ;       Child Loop BB31_10 Depth 3
                                        ;         Child Loop BB31_24 Depth 4
	s_and_not1_b32 vcc_lo, exec_lo, s25
	s_cbranch_vccnz .LBB31_6
; %bb.8:                                ;   in Loop: Header=BB31_7 Depth=2
	v_lshl_add_u32 v16, s26, 5, v29
	s_mov_b32 s36, 0
	s_delay_alu instid0(VALU_DEP_1) | instskip(SKIP_1) | instid1(VALU_DEP_2)
	v_ashrrev_i32_e32 v17, 31, v16
	v_cmp_gt_i32_e32 vcc_lo, s38, v16
	v_mul_u64_e32 v[0:1], s[12:13], v[16:17]
	v_mul_u64_e32 v[2:3], s[28:29], v[16:17]
	v_lshlrev_b64_e32 v[4:5], 4, v[16:17]
	s_and_b32 s27, s3, vcc_lo
	s_delay_alu instid0(VALU_DEP_1) | instskip(NEXT) | instid1(VALU_DEP_4)
	v_add_nc_u64_e32 v[20:21], s[16:17], v[4:5]
	v_lshl_add_u64 v[18:19], v[0:1], 4, s[16:17]
	s_delay_alu instid0(VALU_DEP_4) | instskip(NEXT) | instid1(VALU_DEP_2)
	v_lshl_add_u64 v[24:25], v[2:3], 4, v[14:15]
	v_add_nc_u64_e32 v[22:23], v[18:19], v[4:5]
	s_branch .LBB31_10
.LBB31_9:                               ;   in Loop: Header=BB31_10 Depth=3
	s_wait_xcnt 0x0
	s_or_b32 exec_lo, exec_lo, s0
	s_add_co_i32 s36, s36, 32
	s_wait_storecnt 0x0
	s_cmp_ge_i32 s36, s38
	s_barrier_signal -1
	s_barrier_wait -1
	s_cbranch_scc1 .LBB31_6
.LBB31_10:                              ;   Parent Loop BB31_4 Depth=1
                                        ;     Parent Loop BB31_7 Depth=2
                                        ; =>    This Loop Header: Depth=3
                                        ;         Child Loop BB31_24 Depth 4
	v_add_nc_u32_e32 v2, s36, v29
	v_mov_b64_e32 v[0:1], 0
	v_mov_b64_e32 v[4:5], 0
	;; [unrolled: 1-line block ×3, first 2 shown]
	s_delay_alu instid0(VALU_DEP_4) | instskip(SKIP_1) | instid1(SALU_CYCLE_1)
	v_cmp_gt_i32_e32 vcc_lo, s38, v2
	s_and_b32 s37, s3, vcc_lo
	s_and_saveexec_b32 s0, s37
	s_cbranch_execz .LBB31_12
; %bb.11:                               ;   in Loop: Header=BB31_10 Depth=3
	v_ashrrev_i32_e32 v3, 31, v2
	s_delay_alu instid0(VALU_DEP_1) | instskip(NEXT) | instid1(VALU_DEP_1)
	v_mul_u64_e32 v[2:3], s[20:21], v[2:3]
	v_lshl_add_u64 v[2:3], v[2:3], 4, v[12:13]
	global_load_b128 v[4:7], v[2:3], off
.LBB31_12:                              ;   in Loop: Header=BB31_10 Depth=3
	s_wait_xcnt 0x0
	s_or_b32 exec_lo, exec_lo, s0
	v_add_nc_u32_e32 v26, s36, v28
	s_mov_b32 s37, exec_lo
	s_wait_loadcnt 0x0
	ds_store_b128 v32, v[4:7]
	v_dual_cndmask_b32 v17, v16, v26, s2 :: v_dual_cndmask_b32 v27, v26, v16, s2
	s_delay_alu instid0(VALU_DEP_1) | instskip(SKIP_2) | instid1(VALU_DEP_2)
	v_cmp_gt_i32_e32 vcc_lo, v17, v27
	v_dual_cndmask_b32 v2, v26, v16 :: v_dual_cndmask_b32 v3, v16, v26
	v_cmp_le_i32_e32 vcc_lo, v17, v27
	v_max_i32_e32 v33, v2, v3
	v_mov_b64_e32 v[2:3], 0
	s_delay_alu instid0(VALU_DEP_2)
	v_cmpx_gt_i32_e64 s38, v33
	s_cbranch_execz .LBB31_22
; %bb.13:                               ;   in Loop: Header=BB31_10 Depth=3
                                        ; implicit-def: $vgpr2_vgpr3
	s_and_saveexec_b32 s0, vcc_lo
	s_delay_alu instid0(SALU_CYCLE_1)
	s_xor_b32 s0, exec_lo, s0
	s_cbranch_execz .LBB31_19
; %bb.14:                               ;   in Loop: Header=BB31_10 Depth=3
	s_mov_b32 s39, exec_lo
                                        ; implicit-def: $vgpr2_vgpr3
	v_cmpx_ne_u32_e64 v26, v16
	s_xor_b32 s39, exec_lo, s39
	s_cbranch_execz .LBB31_16
; %bb.15:                               ;   in Loop: Header=BB31_10 Depth=3
	v_ashrrev_i32_e32 v27, 31, v26
	s_delay_alu instid0(VALU_DEP_1)
	v_lshl_add_u64 v[0:1], v[26:27], 4, v[18:19]
	global_load_b128 v[0:3], v[0:1], off
.LBB31_16:                              ;   in Loop: Header=BB31_10 Depth=3
	s_wait_xcnt 0x0
	s_and_not1_saveexec_b32 s39, s39
	s_cbranch_execz .LBB31_18
; %bb.17:                               ;   in Loop: Header=BB31_10 Depth=3
	s_wait_loadcnt 0x0
	global_load_b64 v[0:1], v[22:23], off
	v_mov_b64_e32 v[2:3], 0
.LBB31_18:                              ;   in Loop: Header=BB31_10 Depth=3
	s_wait_xcnt 0x0
	s_or_b32 exec_lo, exec_lo, s39
                                        ; implicit-def: $vgpr26
.LBB31_19:                              ;   in Loop: Header=BB31_10 Depth=3
	s_and_not1_saveexec_b32 s0, s0
	s_cbranch_execz .LBB31_21
; %bb.20:                               ;   in Loop: Header=BB31_10 Depth=3
	v_ashrrev_i32_e32 v27, 31, v26
	s_wait_loadcnt 0x0
	s_delay_alu instid0(VALU_DEP_1) | instskip(NEXT) | instid1(VALU_DEP_1)
	v_mul_u64_e32 v[0:1], s[12:13], v[26:27]
	v_lshl_add_u64 v[0:1], v[0:1], 4, v[20:21]
	global_load_b128 v[0:3], v[0:1], off
	s_wait_loadcnt 0x0
	v_xor_b32_e32 v3, 0x80000000, v3
.LBB31_21:                              ;   in Loop: Header=BB31_10 Depth=3
	s_or_b32 exec_lo, exec_lo, s0
.LBB31_22:                              ;   in Loop: Header=BB31_10 Depth=3
	s_delay_alu instid0(SALU_CYCLE_1)
	s_or_b32 exec_lo, exec_lo, s37
	v_add_nc_u32_e32 v4, v31, v30
	s_wait_loadcnt 0x0
	ds_store_b128 v4, v[0:3]
	s_wait_dscnt 0x0
	s_barrier_signal -1
	s_barrier_wait -1
	s_and_saveexec_b32 s0, s27
	s_cbranch_execz .LBB31_9
; %bb.23:                               ;   in Loop: Header=BB31_10 Depth=3
	v_mov_b64_e32 v[0:1], 0
	v_mov_b64_e32 v[2:3], 0
	v_mov_b32_e32 v4, v31
	s_mov_b32 s37, 0
.LBB31_24:                              ;   Parent Loop BB31_4 Depth=1
                                        ;     Parent Loop BB31_7 Depth=2
                                        ;       Parent Loop BB31_10 Depth=3
                                        ; =>      This Inner Loop Header: Depth=4
	s_delay_alu instid0(SALU_CYCLE_1)
	v_add_nc_u32_e32 v5, s37, v30
	s_addk_co_i32 s37, 0x80
	ds_load_b128 v[34:37], v4
	ds_load_b128 v[38:41], v5
	ds_load_b128 v[42:45], v4 offset:512
	ds_load_b128 v[46:49], v5 offset:16
	s_cmp_eq_u32 s37, 0x200
	s_wait_dscnt 0x2
	v_mul_f64_e32 v[6:7], v[36:37], v[40:41]
	v_mul_f64_e32 v[26:27], v[34:35], v[40:41]
	s_wait_dscnt 0x0
	v_mul_f64_e32 v[56:57], v[44:45], v[48:49]
	v_mul_f64_e32 v[58:59], v[42:43], v[48:49]
	s_delay_alu instid0(VALU_DEP_4) | instskip(NEXT) | instid1(VALU_DEP_4)
	v_fma_f64 v[6:7], v[34:35], v[38:39], -v[6:7]
	v_fmac_f64_e32 v[26:27], v[36:37], v[38:39]
	ds_load_b128 v[34:37], v4 offset:1024
	ds_load_b128 v[38:41], v5 offset:32
	;; [unrolled: 1-line block ×4, first 2 shown]
	v_fmac_f64_e32 v[58:59], v[44:45], v[46:47]
	s_wait_dscnt 0x2
	v_mul_f64_e32 v[60:61], v[36:37], v[40:41]
	v_mul_f64_e32 v[62:63], v[34:35], v[40:41]
	v_fma_f64 v[40:41], v[42:43], v[46:47], -v[56:57]
	v_add_f64_e32 v[0:1], v[0:1], v[6:7]
	v_add_f64_e32 v[2:3], v[2:3], v[26:27]
	s_wait_dscnt 0x0
	v_mul_f64_e32 v[6:7], v[50:51], v[54:55]
	v_mul_f64_e32 v[26:27], v[48:49], v[54:55]
	v_fma_f64 v[46:47], v[34:35], v[38:39], -v[60:61]
	v_fmac_f64_e32 v[62:63], v[36:37], v[38:39]
	v_add_f64_e32 v[54:55], v[0:1], v[40:41]
	v_add_f64_e32 v[56:57], v[2:3], v[58:59]
	ds_load_b128 v[0:3], v4 offset:2048
	ds_load_b128 v[34:37], v5 offset:64
	;; [unrolled: 1-line block ×4, first 2 shown]
	v_fma_f64 v[6:7], v[48:49], v[52:53], -v[6:7]
	v_fmac_f64_e32 v[26:27], v[50:51], v[52:53]
	s_wait_dscnt 0x2
	v_mul_f64_e32 v[58:59], v[2:3], v[36:37]
	v_mul_f64_e32 v[60:61], v[0:1], v[36:37]
	s_wait_dscnt 0x0
	v_mul_f64_e32 v[52:53], v[40:41], v[44:45]
	v_add_f64_e32 v[36:37], v[54:55], v[46:47]
	v_add_f64_e32 v[46:47], v[56:57], v[62:63]
	v_mul_f64_e32 v[54:55], v[38:39], v[44:45]
	v_fma_f64 v[56:57], v[0:1], v[34:35], -v[58:59]
	v_fmac_f64_e32 v[60:61], v[2:3], v[34:35]
	v_fma_f64 v[38:39], v[38:39], v[42:43], -v[52:53]
	v_add_f64_e32 v[6:7], v[36:37], v[6:7]
	v_add_f64_e32 v[26:27], v[46:47], v[26:27]
	ds_load_b128 v[0:3], v4 offset:3072
	ds_load_b128 v[34:37], v5 offset:96
	;; [unrolled: 1-line block ×4, first 2 shown]
	v_fmac_f64_e32 v[54:55], v[40:41], v[42:43]
	v_add_nc_u32_e32 v4, 0x1000, v4
	s_wait_dscnt 0x2
	v_mul_f64_e32 v[58:59], v[2:3], v[36:37]
	v_mul_f64_e32 v[36:37], v[0:1], v[36:37]
	s_wait_dscnt 0x0
	v_mul_f64_e32 v[40:41], v[46:47], v[50:51]
	v_mul_f64_e32 v[42:43], v[44:45], v[50:51]
	v_add_f64_e32 v[6:7], v[6:7], v[56:57]
	v_add_f64_e32 v[26:27], v[26:27], v[60:61]
	v_fma_f64 v[0:1], v[0:1], v[34:35], -v[58:59]
	v_fmac_f64_e32 v[36:37], v[2:3], v[34:35]
	v_fmac_f64_e32 v[42:43], v[46:47], v[48:49]
	v_add_f64_e32 v[2:3], v[6:7], v[38:39]
	v_add_f64_e32 v[6:7], v[26:27], v[54:55]
	v_fma_f64 v[26:27], v[44:45], v[48:49], -v[40:41]
	s_delay_alu instid0(VALU_DEP_3) | instskip(NEXT) | instid1(VALU_DEP_3)
	v_add_f64_e32 v[0:1], v[2:3], v[0:1]
	v_add_f64_e32 v[2:3], v[6:7], v[36:37]
	s_delay_alu instid0(VALU_DEP_2) | instskip(NEXT) | instid1(VALU_DEP_2)
	v_add_f64_e32 v[0:1], v[0:1], v[26:27]
	v_add_f64_e32 v[2:3], v[2:3], v[42:43]
	s_cbranch_scc0 .LBB31_24
; %bb.25:                               ;   in Loop: Header=BB31_10 Depth=3
	global_load_b128 v[4:7], v[24:25], off
	v_mul_f64_e32 v[26:27], s[6:7], v[2:3]
	v_mul_f64_e32 v[34:35], s[6:7], v[0:1]
	s_delay_alu instid0(VALU_DEP_2) | instskip(NEXT) | instid1(VALU_DEP_2)
	v_fma_f64 v[0:1], s[4:5], v[0:1], -v[26:27]
	v_fmac_f64_e32 v[34:35], s[4:5], v[2:3]
	s_wait_loadcnt 0x0
	s_delay_alu instid0(VALU_DEP_2) | instskip(NEXT) | instid1(VALU_DEP_2)
	v_add_f64_e32 v[0:1], v[0:1], v[4:5]
	v_add_f64_e32 v[2:3], v[34:35], v[6:7]
	global_store_b128 v[24:25], v[0:3], off
	s_branch .LBB31_9
.LBB31_26:
	s_endpgm
	.section	.rodata,"a",@progbits
	.p2align	6, 0x0
	.amdhsa_kernel _ZL24rocblas_symm_hemm_kernelILb1ELb1ELi32E19rocblas_complex_numIdEPKS1_PS1_EvbiiT2_T3_lllS6_lllT4_llli
		.amdhsa_group_segment_fixed_size 32768
		.amdhsa_private_segment_fixed_size 0
		.amdhsa_kernarg_size 392
		.amdhsa_user_sgpr_count 2
		.amdhsa_user_sgpr_dispatch_ptr 0
		.amdhsa_user_sgpr_queue_ptr 0
		.amdhsa_user_sgpr_kernarg_segment_ptr 1
		.amdhsa_user_sgpr_dispatch_id 0
		.amdhsa_user_sgpr_kernarg_preload_length 0
		.amdhsa_user_sgpr_kernarg_preload_offset 0
		.amdhsa_user_sgpr_private_segment_size 0
		.amdhsa_wavefront_size32 1
		.amdhsa_uses_dynamic_stack 0
		.amdhsa_enable_private_segment 0
		.amdhsa_system_sgpr_workgroup_id_x 1
		.amdhsa_system_sgpr_workgroup_id_y 1
		.amdhsa_system_sgpr_workgroup_id_z 1
		.amdhsa_system_sgpr_workgroup_info 0
		.amdhsa_system_vgpr_workitem_id 1
		.amdhsa_next_free_vgpr 64
		.amdhsa_next_free_sgpr 42
		.amdhsa_named_barrier_count 0
		.amdhsa_reserve_vcc 1
		.amdhsa_float_round_mode_32 0
		.amdhsa_float_round_mode_16_64 0
		.amdhsa_float_denorm_mode_32 3
		.amdhsa_float_denorm_mode_16_64 3
		.amdhsa_fp16_overflow 0
		.amdhsa_memory_ordered 1
		.amdhsa_forward_progress 1
		.amdhsa_inst_pref_size 12
		.amdhsa_round_robin_scheduling 0
		.amdhsa_exception_fp_ieee_invalid_op 0
		.amdhsa_exception_fp_denorm_src 0
		.amdhsa_exception_fp_ieee_div_zero 0
		.amdhsa_exception_fp_ieee_overflow 0
		.amdhsa_exception_fp_ieee_underflow 0
		.amdhsa_exception_fp_ieee_inexact 0
		.amdhsa_exception_int_div_zero 0
	.end_amdhsa_kernel
	.section	.text._ZL24rocblas_symm_hemm_kernelILb1ELb1ELi32E19rocblas_complex_numIdEPKS1_PS1_EvbiiT2_T3_lllS6_lllT4_llli,"axG",@progbits,_ZL24rocblas_symm_hemm_kernelILb1ELb1ELi32E19rocblas_complex_numIdEPKS1_PS1_EvbiiT2_T3_lllS6_lllT4_llli,comdat
.Lfunc_end31:
	.size	_ZL24rocblas_symm_hemm_kernelILb1ELb1ELi32E19rocblas_complex_numIdEPKS1_PS1_EvbiiT2_T3_lllS6_lllT4_llli, .Lfunc_end31-_ZL24rocblas_symm_hemm_kernelILb1ELb1ELi32E19rocblas_complex_numIdEPKS1_PS1_EvbiiT2_T3_lllS6_lllT4_llli
                                        ; -- End function
	.set _ZL24rocblas_symm_hemm_kernelILb1ELb1ELi32E19rocblas_complex_numIdEPKS1_PS1_EvbiiT2_T3_lllS6_lllT4_llli.num_vgpr, 64
	.set _ZL24rocblas_symm_hemm_kernelILb1ELb1ELi32E19rocblas_complex_numIdEPKS1_PS1_EvbiiT2_T3_lllS6_lllT4_llli.num_agpr, 0
	.set _ZL24rocblas_symm_hemm_kernelILb1ELb1ELi32E19rocblas_complex_numIdEPKS1_PS1_EvbiiT2_T3_lllS6_lllT4_llli.numbered_sgpr, 42
	.set _ZL24rocblas_symm_hemm_kernelILb1ELb1ELi32E19rocblas_complex_numIdEPKS1_PS1_EvbiiT2_T3_lllS6_lllT4_llli.num_named_barrier, 0
	.set _ZL24rocblas_symm_hemm_kernelILb1ELb1ELi32E19rocblas_complex_numIdEPKS1_PS1_EvbiiT2_T3_lllS6_lllT4_llli.private_seg_size, 0
	.set _ZL24rocblas_symm_hemm_kernelILb1ELb1ELi32E19rocblas_complex_numIdEPKS1_PS1_EvbiiT2_T3_lllS6_lllT4_llli.uses_vcc, 1
	.set _ZL24rocblas_symm_hemm_kernelILb1ELb1ELi32E19rocblas_complex_numIdEPKS1_PS1_EvbiiT2_T3_lllS6_lllT4_llli.uses_flat_scratch, 0
	.set _ZL24rocblas_symm_hemm_kernelILb1ELb1ELi32E19rocblas_complex_numIdEPKS1_PS1_EvbiiT2_T3_lllS6_lllT4_llli.has_dyn_sized_stack, 0
	.set _ZL24rocblas_symm_hemm_kernelILb1ELb1ELi32E19rocblas_complex_numIdEPKS1_PS1_EvbiiT2_T3_lllS6_lllT4_llli.has_recursion, 0
	.set _ZL24rocblas_symm_hemm_kernelILb1ELb1ELi32E19rocblas_complex_numIdEPKS1_PS1_EvbiiT2_T3_lllS6_lllT4_llli.has_indirect_call, 0
	.section	.AMDGPU.csdata,"",@progbits
; Kernel info:
; codeLenInByte = 1480
; TotalNumSgprs: 44
; NumVgprs: 64
; ScratchSize: 0
; MemoryBound: 1
; FloatMode: 240
; IeeeMode: 1
; LDSByteSize: 32768 bytes/workgroup (compile time only)
; SGPRBlocks: 0
; VGPRBlocks: 3
; NumSGPRsForWavesPerEU: 44
; NumVGPRsForWavesPerEU: 64
; NamedBarCnt: 0
; Occupancy: 16
; WaveLimiterHint : 1
; COMPUTE_PGM_RSRC2:SCRATCH_EN: 0
; COMPUTE_PGM_RSRC2:USER_SGPR: 2
; COMPUTE_PGM_RSRC2:TRAP_HANDLER: 0
; COMPUTE_PGM_RSRC2:TGID_X_EN: 1
; COMPUTE_PGM_RSRC2:TGID_Y_EN: 1
; COMPUTE_PGM_RSRC2:TGID_Z_EN: 1
; COMPUTE_PGM_RSRC2:TIDIG_COMP_CNT: 1
	.section	.text._ZL25rocblas_symm_scale_kernelILi128ELi8EPKfPKPfEviiT1_T2_llli,"axG",@progbits,_ZL25rocblas_symm_scale_kernelILi128ELi8EPKfPKPfEviiT1_T2_llli,comdat
	.globl	_ZL25rocblas_symm_scale_kernelILi128ELi8EPKfPKPfEviiT1_T2_llli ; -- Begin function _ZL25rocblas_symm_scale_kernelILi128ELi8EPKfPKPfEviiT1_T2_llli
	.p2align	8
	.type	_ZL25rocblas_symm_scale_kernelILi128ELi8EPKfPKPfEviiT1_T2_llli,@function
_ZL25rocblas_symm_scale_kernelILi128ELi8EPKfPKPfEviiT1_T2_llli: ; @_ZL25rocblas_symm_scale_kernelILi128ELi8EPKfPKPfEviiT1_T2_llli
; %bb.0:
	s_load_b256 s[4:11], s[0:1], 0x8
	s_wait_kmcnt 0x0
	s_load_b32 s12, s[4:5], 0x0
	s_wait_kmcnt 0x0
	s_cmp_eq_f32 s12, 1.0
	s_cbranch_scc1 .LBB32_10
; %bb.1:
	s_load_b32 s13, s[0:1], 0x30
	s_bfe_u32 s2, ttmp6, 0x40014
	s_lshr_b32 s3, ttmp7, 16
	s_add_co_i32 s2, s2, 1
	s_bfe_u32 s5, ttmp6, 0x40008
	s_mul_i32 s4, s3, s2
	s_getreg_b32 s2, hwreg(HW_REG_IB_STS2, 6, 4)
	s_add_co_i32 s5, s5, s4
	s_cmp_eq_u32 s2, 0
	s_cselect_b32 s14, s3, s5
	s_mov_b32 s3, 0
	s_wait_kmcnt 0x0
	s_cmp_ge_u32 s14, s13
	s_cbranch_scc1 .LBB32_10
; %bb.2:
	s_bfe_u32 s4, ttmp6, 0x40010
	s_bfe_u32 s15, ttmp6, 0x4000c
	s_and_b32 s5, ttmp7, 0xffff
	s_add_co_i32 s4, s4, 1
	s_add_co_i32 s15, s15, 1
	s_mul_i32 s4, s5, s4
	s_bfe_u32 s16, ttmp6, 0x40004
	s_and_b32 s17, ttmp6, 15
	s_mul_i32 s15, ttmp9, s15
	s_add_co_i32 s16, s16, s4
	s_add_co_i32 s4, s17, s15
	v_bfe_u32 v1, v0, 10, 10
	s_cmp_eq_u32 s2, 0
	v_mov_b32_e32 v3, 0
	s_cselect_b32 s2, s5, s16
	s_load_b64 s[16:17], s[0:1], 0x0
	v_lshl_add_u32 v2, s2, 3, v1
	v_and_b32_e32 v0, 0x3ff, v0
	s_cselect_b32 s2, ttmp9, s4
	v_mov_b32_e32 v1, v3
	s_wait_xcnt 0x0
	s_add_nc_u64 s[0:1], s[0:1], 56
	v_mul_u64_e32 v[4:5], s[10:11], v[2:3]
	v_lshl_add_u32 v0, s2, 7, v0
	s_wait_kmcnt 0x0
	s_ashr_i32 s5, s17, 31
	s_mov_b32 s4, s17
	s_delay_alu instid0(VALU_DEP_1)
	v_cmp_gt_u32_e64 s2, s16, v0
	v_cmp_gt_i64_e32 vcc_lo, s[4:5], v[2:3]
	s_and_b32 s15, s2, vcc_lo
	s_cmp_neq_f32 s12, 0
	s_cselect_b32 s16, -1, 0
	s_lshl_b64 s[8:9], s[8:9], 2
	s_delay_alu instid0(SALU_CYCLE_1) | instskip(SKIP_1) | instid1(VALU_DEP_1)
	v_lshl_add_u64 v[4:5], v[4:5], 2, s[8:9]
	s_lshl_b64 s[8:9], s[10:11], 2
	v_lshl_add_u64 v[0:1], v[0:1], 2, v[4:5]
	s_branch .LBB32_4
.LBB32_3:                               ;   in Loop: Header=BB32_4 Depth=1
	s_or_b32 exec_lo, exec_lo, s17
	s_add_co_i32 s14, s14, 0x10000
	s_delay_alu instid0(SALU_CYCLE_1)
	s_cmp_lt_u32 s14, s13
	s_cbranch_scc0 .LBB32_10
.LBB32_4:                               ; =>This Loop Header: Depth=1
                                        ;     Child Loop BB32_8 Depth 2
	s_and_saveexec_b32 s17, s15
	s_cbranch_execz .LBB32_3
; %bb.5:                                ;   in Loop: Header=BB32_4 Depth=1
	s_load_b64 s[10:11], s[6:7], s14 offset:0x0 scale_offset
	s_load_b32 s2, s[0:1], 0x4
	v_mov_b64_e32 v[6:7], v[2:3]
	s_mov_b32 s18, 0
	s_wait_kmcnt 0x0
	v_add_nc_u64_e32 v[4:5], s[10:11], v[0:1]
	s_lshl_b32 s2, s2, 3
	s_delay_alu instid0(SALU_CYCLE_1)
	s_mul_u64 s[10:11], s[8:9], s[2:3]
	s_branch .LBB32_8
.LBB32_6:                               ;   in Loop: Header=BB32_8 Depth=2
	flat_load_b32 v8, v[4:5]
	s_wait_loadcnt_dscnt 0x0
	v_mul_f32_e32 v8, s12, v8
.LBB32_7:                               ;   in Loop: Header=BB32_8 Depth=2
	v_add_nc_u64_e32 v[6:7], s[2:3], v[6:7]
	flat_store_b32 v[4:5], v8
	s_wait_xcnt 0x0
	v_add_nc_u64_e32 v[4:5], s[10:11], v[4:5]
	v_cmp_le_i64_e32 vcc_lo, s[4:5], v[6:7]
	s_or_b32 s18, vcc_lo, s18
	s_delay_alu instid0(SALU_CYCLE_1)
	s_and_not1_b32 exec_lo, exec_lo, s18
	s_cbranch_execz .LBB32_3
.LBB32_8:                               ;   Parent Loop BB32_4 Depth=1
                                        ; =>  This Inner Loop Header: Depth=2
	s_and_not1_b32 vcc_lo, exec_lo, s16
	s_cbranch_vccz .LBB32_6
; %bb.9:                                ;   in Loop: Header=BB32_8 Depth=2
	v_mov_b32_e32 v8, 0
	s_branch .LBB32_7
.LBB32_10:
	s_endpgm
	.section	.rodata,"a",@progbits
	.p2align	6, 0x0
	.amdhsa_kernel _ZL25rocblas_symm_scale_kernelILi128ELi8EPKfPKPfEviiT1_T2_llli
		.amdhsa_group_segment_fixed_size 0
		.amdhsa_private_segment_fixed_size 0
		.amdhsa_kernarg_size 312
		.amdhsa_user_sgpr_count 2
		.amdhsa_user_sgpr_dispatch_ptr 0
		.amdhsa_user_sgpr_queue_ptr 0
		.amdhsa_user_sgpr_kernarg_segment_ptr 1
		.amdhsa_user_sgpr_dispatch_id 0
		.amdhsa_user_sgpr_kernarg_preload_length 0
		.amdhsa_user_sgpr_kernarg_preload_offset 0
		.amdhsa_user_sgpr_private_segment_size 0
		.amdhsa_wavefront_size32 1
		.amdhsa_uses_dynamic_stack 0
		.amdhsa_enable_private_segment 0
		.amdhsa_system_sgpr_workgroup_id_x 1
		.amdhsa_system_sgpr_workgroup_id_y 1
		.amdhsa_system_sgpr_workgroup_id_z 1
		.amdhsa_system_sgpr_workgroup_info 0
		.amdhsa_system_vgpr_workitem_id 1
		.amdhsa_next_free_vgpr 9
		.amdhsa_next_free_sgpr 19
		.amdhsa_named_barrier_count 0
		.amdhsa_reserve_vcc 1
		.amdhsa_float_round_mode_32 0
		.amdhsa_float_round_mode_16_64 0
		.amdhsa_float_denorm_mode_32 3
		.amdhsa_float_denorm_mode_16_64 3
		.amdhsa_fp16_overflow 0
		.amdhsa_memory_ordered 1
		.amdhsa_forward_progress 1
		.amdhsa_inst_pref_size 4
		.amdhsa_round_robin_scheduling 0
		.amdhsa_exception_fp_ieee_invalid_op 0
		.amdhsa_exception_fp_denorm_src 0
		.amdhsa_exception_fp_ieee_div_zero 0
		.amdhsa_exception_fp_ieee_overflow 0
		.amdhsa_exception_fp_ieee_underflow 0
		.amdhsa_exception_fp_ieee_inexact 0
		.amdhsa_exception_int_div_zero 0
	.end_amdhsa_kernel
	.section	.text._ZL25rocblas_symm_scale_kernelILi128ELi8EPKfPKPfEviiT1_T2_llli,"axG",@progbits,_ZL25rocblas_symm_scale_kernelILi128ELi8EPKfPKPfEviiT1_T2_llli,comdat
.Lfunc_end32:
	.size	_ZL25rocblas_symm_scale_kernelILi128ELi8EPKfPKPfEviiT1_T2_llli, .Lfunc_end32-_ZL25rocblas_symm_scale_kernelILi128ELi8EPKfPKPfEviiT1_T2_llli
                                        ; -- End function
	.set _ZL25rocblas_symm_scale_kernelILi128ELi8EPKfPKPfEviiT1_T2_llli.num_vgpr, 9
	.set _ZL25rocblas_symm_scale_kernelILi128ELi8EPKfPKPfEviiT1_T2_llli.num_agpr, 0
	.set _ZL25rocblas_symm_scale_kernelILi128ELi8EPKfPKPfEviiT1_T2_llli.numbered_sgpr, 19
	.set _ZL25rocblas_symm_scale_kernelILi128ELi8EPKfPKPfEviiT1_T2_llli.num_named_barrier, 0
	.set _ZL25rocblas_symm_scale_kernelILi128ELi8EPKfPKPfEviiT1_T2_llli.private_seg_size, 0
	.set _ZL25rocblas_symm_scale_kernelILi128ELi8EPKfPKPfEviiT1_T2_llli.uses_vcc, 1
	.set _ZL25rocblas_symm_scale_kernelILi128ELi8EPKfPKPfEviiT1_T2_llli.uses_flat_scratch, 0
	.set _ZL25rocblas_symm_scale_kernelILi128ELi8EPKfPKPfEviiT1_T2_llli.has_dyn_sized_stack, 0
	.set _ZL25rocblas_symm_scale_kernelILi128ELi8EPKfPKPfEviiT1_T2_llli.has_recursion, 0
	.set _ZL25rocblas_symm_scale_kernelILi128ELi8EPKfPKPfEviiT1_T2_llli.has_indirect_call, 0
	.section	.AMDGPU.csdata,"",@progbits
; Kernel info:
; codeLenInByte = 468
; TotalNumSgprs: 21
; NumVgprs: 9
; ScratchSize: 0
; MemoryBound: 0
; FloatMode: 240
; IeeeMode: 1
; LDSByteSize: 0 bytes/workgroup (compile time only)
; SGPRBlocks: 0
; VGPRBlocks: 0
; NumSGPRsForWavesPerEU: 21
; NumVGPRsForWavesPerEU: 9
; NamedBarCnt: 0
; Occupancy: 16
; WaveLimiterHint : 0
; COMPUTE_PGM_RSRC2:SCRATCH_EN: 0
; COMPUTE_PGM_RSRC2:USER_SGPR: 2
; COMPUTE_PGM_RSRC2:TRAP_HANDLER: 0
; COMPUTE_PGM_RSRC2:TGID_X_EN: 1
; COMPUTE_PGM_RSRC2:TGID_Y_EN: 1
; COMPUTE_PGM_RSRC2:TGID_Z_EN: 1
; COMPUTE_PGM_RSRC2:TIDIG_COMP_CNT: 1
	.section	.text._ZL24rocblas_symm_hemm_kernelILb0ELb0ELi32EPKfPKS1_PKPfEvbiiT2_T3_lllS8_lllT4_llli,"axG",@progbits,_ZL24rocblas_symm_hemm_kernelILb0ELb0ELi32EPKfPKS1_PKPfEvbiiT2_T3_lllS8_lllT4_llli,comdat
	.globl	_ZL24rocblas_symm_hemm_kernelILb0ELb0ELi32EPKfPKS1_PKPfEvbiiT2_T3_lllS8_lllT4_llli ; -- Begin function _ZL24rocblas_symm_hemm_kernelILb0ELb0ELi32EPKfPKS1_PKPfEvbiiT2_T3_lllS8_lllT4_llli
	.p2align	8
	.type	_ZL24rocblas_symm_hemm_kernelILb0ELb0ELi32EPKfPKS1_PKPfEvbiiT2_T3_lllS8_lllT4_llli,@function
_ZL24rocblas_symm_hemm_kernelILb0ELb0ELi32EPKfPKS1_PKPfEvbiiT2_T3_lllS8_lllT4_llli: ; @_ZL24rocblas_symm_hemm_kernelILb0ELb0ELi32EPKfPKS1_PKPfEvbiiT2_T3_lllS8_lllT4_llli
; %bb.0:
	s_load_b256 s[4:11], s[0:1], 0x10
	s_wait_kmcnt 0x0
	s_load_b32 s3, s[4:5], 0x0
	s_wait_kmcnt 0x0
	s_cmp_eq_f32 s3, 0
	s_cbranch_scc1 .LBB33_16
; %bb.1:
	s_load_b32 s23, s[0:1], 0x78
	s_bfe_u32 s2, ttmp6, 0x40014
	s_lshr_b32 s4, ttmp7, 16
	s_add_co_i32 s2, s2, 1
	s_bfe_u32 s12, ttmp6, 0x40008
	s_mul_i32 s5, s4, s2
	s_getreg_b32 s2, hwreg(HW_REG_IB_STS2, 6, 4)
	s_add_co_i32 s12, s12, s5
	s_cmp_eq_u32 s2, 0
	s_cselect_b32 s33, s4, s12
	s_wait_kmcnt 0x0
	s_cmp_ge_u32 s33, s23
	s_cbranch_scc1 .LBB33_16
; %bb.2:
	s_clause 0x4
	s_load_b96 s[20:22], s[0:1], 0x0
	s_load_b128 s[12:15], s[0:1], 0x38
	s_load_b64 s[4:5], s[0:1], 0x68
	s_load_b64 s[24:25], s[0:1], 0x48
	s_load_b128 s[16:19], s[0:1], 0x58
	s_add_nc_u64 s[26:27], s[0:1], 0x80
	v_and_b32_e32 v12, 0x3ff, v0
	v_bfe_u32 v13, v0, 10, 10
	s_delay_alu instid0(VALU_DEP_1) | instskip(NEXT) | instid1(VALU_DEP_1)
	v_dual_lshlrev_b32 v14, 7, v12 :: v_dual_lshlrev_b32 v0, 2, v13
	v_or_b32_e32 v16, 0x1000, v0
	s_delay_alu instid0(VALU_DEP_1)
	v_dual_add_nc_u32 v15, v14, v0 :: v_dual_add_nc_u32 v17, v16, v14
	s_wait_kmcnt 0x0
	s_bitcmp1_b32 s20, 0
	v_add_nc_u32_e32 v18, 0x400, v16
	s_cselect_b32 s0, -1, 0
	s_add_co_i32 s1, s22, -1
	s_bfe_u32 s28, ttmp6, 0x4000c
	s_bfe_u32 s30, ttmp6, 0x40010
	s_ashr_i32 s34, s1, 31
	s_and_b32 s29, ttmp7, 0xffff
	s_add_co_i32 s28, s28, 1
	s_add_co_i32 s30, s30, 1
	s_lshr_b32 s34, s34, 27
	s_and_b32 s20, ttmp6, 15
	s_bfe_u32 s31, ttmp6, 0x40004
	s_mul_i32 s28, ttmp9, s28
	s_mul_i32 s30, s29, s30
	s_add_co_i32 s1, s1, s34
	s_add_co_i32 s28, s20, s28
	s_add_co_i32 s31, s31, s30
	s_ashr_i32 s20, s1, 5
	s_cmp_eq_u32 s2, 0
	v_add_nc_u32_e32 v19, 0x800, v16
	s_cselect_b32 s1, ttmp9, s28
	s_cselect_b32 s34, s29, s31
	v_lshl_add_u32 v0, s1, 5, v12
	s_cmp_le_i32 s34, s20
	v_add_nc_u32_e32 v20, 0xc00, v16
	s_cselect_b32 s35, -1, 0
	s_cmp_gt_i32 s21, 0
	v_cmp_gt_i32_e64 s1, s21, v0
	v_ashrrev_i32_e32 v1, 31, v0
	s_cselect_b32 s36, -1, 0
	s_lshl_b64 s[8:9], s[8:9], 2
	s_lshl_b64 s[14:15], s[14:15], 2
	;; [unrolled: 1-line block ×3, first 2 shown]
	s_branch .LBB33_4
.LBB33_3:                               ;   in Loop: Header=BB33_4 Depth=1
	s_add_co_i32 s33, s33, 0x10000
	s_delay_alu instid0(SALU_CYCLE_1)
	s_cmp_lt_u32 s33, s23
	s_cbranch_scc0 .LBB33_16
.LBB33_4:                               ; =>This Loop Header: Depth=1
                                        ;     Child Loop BB33_7 Depth 2
                                        ;       Child Loop BB33_10 Depth 3
	s_and_not1_b32 vcc_lo, exec_lo, s35
	s_cbranch_vccnz .LBB33_3
; %bb.5:                                ;   in Loop: Header=BB33_4 Depth=1
	s_load_b64 s[28:29], s[16:17], s33 offset:0x0 scale_offset
	s_load_b64 s[30:31], s[6:7], s33 offset:0x0 scale_offset
	;; [unrolled: 1-line block ×3, first 2 shown]
	s_load_b32 s37, s[26:27], 0x4
	s_wait_kmcnt 0x0
	s_add_nc_u64 s[28:29], s[28:29], s[18:19]
	s_delay_alu instid0(SALU_CYCLE_1)
	v_lshl_add_u64 v[2:3], v[0:1], 2, s[28:29]
	s_add_nc_u64 s[28:29], s[30:31], s[8:9]
	s_add_nc_u64 s[30:31], s[38:39], s[14:15]
	s_mov_b32 s38, s34
	s_branch .LBB33_7
.LBB33_6:                               ;   in Loop: Header=BB33_7 Depth=2
	s_add_co_i32 s38, s38, s37
	s_delay_alu instid0(SALU_CYCLE_1)
	s_cmp_gt_i32 s38, s20
	s_cbranch_scc1 .LBB33_3
.LBB33_7:                               ;   Parent Loop BB33_4 Depth=1
                                        ; =>  This Loop Header: Depth=2
                                        ;       Child Loop BB33_10 Depth 3
	s_and_not1_b32 vcc_lo, exec_lo, s36
	s_cbranch_vccnz .LBB33_6
; %bb.8:                                ;   in Loop: Header=BB33_7 Depth=2
	v_lshl_add_u32 v4, s38, 5, v13
	s_mov_b32 s40, 0
	s_delay_alu instid0(VALU_DEP_1) | instskip(SKIP_1) | instid1(VALU_DEP_2)
	v_ashrrev_i32_e32 v5, 31, v4
	v_cmp_gt_i32_e32 vcc_lo, s22, v4
	v_mul_u64_e32 v[6:7], s[24:25], v[4:5]
	v_mul_u64_e32 v[8:9], s[4:5], v[4:5]
	s_and_b32 s39, s1, vcc_lo
	s_delay_alu instid0(VALU_DEP_2) | instskip(NEXT) | instid1(VALU_DEP_2)
	v_lshl_add_u64 v[4:5], v[6:7], 2, s[30:31]
	v_lshl_add_u64 v[6:7], v[8:9], 2, v[2:3]
	s_branch .LBB33_10
.LBB33_9:                               ;   in Loop: Header=BB33_10 Depth=3
	s_wait_xcnt 0x0
	s_or_b32 exec_lo, exec_lo, s2
	s_add_co_i32 s40, s40, 32
	s_wait_storecnt_dscnt 0x0
	s_cmp_ge_i32 s40, s21
	s_barrier_signal -1
	s_barrier_wait -1
	s_cbranch_scc1 .LBB33_6
.LBB33_10:                              ;   Parent Loop BB33_4 Depth=1
                                        ;     Parent Loop BB33_7 Depth=2
                                        ; =>    This Inner Loop Header: Depth=3
	v_dual_add_nc_u32 v9, s40, v13 :: v_dual_mov_b32 v21, 0
	s_delay_alu instid0(VALU_DEP_1) | instskip(NEXT) | instid1(VALU_DEP_1)
	v_dual_cndmask_b32 v8, v9, v0, s0 :: v_dual_cndmask_b32 v10, v0, v9, s0
	v_cmp_gt_i32_e64 s2, v8, v10
	s_delay_alu instid0(VALU_DEP_1) | instskip(NEXT) | instid1(VALU_DEP_1)
	v_dual_cndmask_b32 v8, v0, v9, s2 :: v_dual_cndmask_b32 v10, v9, v0, s2
	v_max_i32_e32 v9, v8, v10
	s_delay_alu instid0(VALU_DEP_1)
	v_cmp_gt_i32_e64 s2, s21, v9
	v_mov_b32_e32 v9, 0
	s_and_saveexec_b32 s41, s2
	s_cbranch_execz .LBB33_12
; %bb.11:                               ;   in Loop: Header=BB33_10 Depth=3
	v_dual_ashrrev_i32 v11, 31, v10 :: v_dual_ashrrev_i32 v9, 31, v8
	s_delay_alu instid0(VALU_DEP_1) | instskip(NEXT) | instid1(VALU_DEP_1)
	v_mul_u64_e32 v[10:11], s[10:11], v[10:11]
	v_lshl_add_u64 v[10:11], v[10:11], 2, s[28:29]
	s_delay_alu instid0(VALU_DEP_1)
	v_lshl_add_u64 v[8:9], v[8:9], 2, v[10:11]
	flat_load_b32 v9, v[8:9]
.LBB33_12:                              ;   in Loop: Header=BB33_10 Depth=3
	s_wait_xcnt 0x0
	s_or_b32 exec_lo, exec_lo, s41
	v_add_nc_u32_e32 v8, s40, v12
	s_wait_loadcnt_dscnt 0x0
	ds_store_b32 v15, v9
	v_cmp_gt_i32_e64 s2, s21, v8
	s_and_b32 s41, s2, vcc_lo
	s_delay_alu instid0(SALU_CYCLE_1)
	s_and_saveexec_b32 s2, s41
	s_cbranch_execz .LBB33_14
; %bb.13:                               ;   in Loop: Header=BB33_10 Depth=3
	v_ashrrev_i32_e32 v9, 31, v8
	s_delay_alu instid0(VALU_DEP_1)
	v_lshl_add_u64 v[8:9], v[8:9], 2, v[4:5]
	flat_load_b32 v21, v[8:9]
.LBB33_14:                              ;   in Loop: Header=BB33_10 Depth=3
	s_wait_xcnt 0x0
	s_or_b32 exec_lo, exec_lo, s2
	s_wait_loadcnt_dscnt 0x0
	ds_store_b32 v17, v21
	s_wait_dscnt 0x0
	s_barrier_signal -1
	s_barrier_wait -1
	s_and_saveexec_b32 s2, s39
	s_cbranch_execz .LBB33_9
; %bb.15:                               ;   in Loop: Header=BB33_10 Depth=3
	flat_load_b32 v21, v[6:7]
	ds_load_b128 v[8:11], v14
	ds_load_2addr_b32 v[26:27], v16 offset1:32
	ds_load_2addr_b32 v[28:29], v16 offset0:64 offset1:96
	ds_load_b128 v[22:25], v14 offset:16
	ds_load_2addr_b32 v[30:31], v16 offset0:128 offset1:160
	s_wait_dscnt 0x3
	v_fma_f32 v32, v8, v26, 0
	s_delay_alu instid0(VALU_DEP_1) | instskip(SKIP_3) | instid1(VALU_DEP_1)
	v_fmac_f32_e32 v32, v9, v27
	ds_load_2addr_b32 v[26:27], v16 offset0:192 offset1:224
	s_wait_dscnt 0x3
	v_fmac_f32_e32 v32, v10, v28
	v_fmac_f32_e32 v32, v11, v29
	ds_load_b128 v[8:11], v14 offset:32
	ds_load_2addr_b32 v[28:29], v18 offset1:32
	s_wait_dscnt 0x3
	v_fmac_f32_e32 v32, v22, v30
	s_delay_alu instid0(VALU_DEP_1) | instskip(SKIP_3) | instid1(VALU_DEP_1)
	v_fmac_f32_e32 v32, v23, v31
	ds_load_2addr_b32 v[30:31], v18 offset0:64 offset1:96
	s_wait_dscnt 0x3
	v_fmac_f32_e32 v32, v24, v26
	v_fmac_f32_e32 v32, v25, v27
	ds_load_b128 v[22:25], v14 offset:48
	ds_load_2addr_b32 v[26:27], v18 offset0:128 offset1:160
	s_wait_dscnt 0x3
	v_fmac_f32_e32 v32, v8, v28
	s_delay_alu instid0(VALU_DEP_1) | instskip(SKIP_3) | instid1(VALU_DEP_1)
	v_fmac_f32_e32 v32, v9, v29
	ds_load_2addr_b32 v[28:29], v18 offset0:192 offset1:224
	s_wait_dscnt 0x3
	v_fmac_f32_e32 v32, v10, v30
	v_fmac_f32_e32 v32, v11, v31
	ds_load_b128 v[8:11], v14 offset:64
	ds_load_2addr_b32 v[30:31], v19 offset1:32
	s_wait_dscnt 0x3
	v_fmac_f32_e32 v32, v22, v26
	s_delay_alu instid0(VALU_DEP_1) | instskip(SKIP_3) | instid1(VALU_DEP_1)
	v_fmac_f32_e32 v32, v23, v27
	ds_load_2addr_b32 v[26:27], v19 offset0:64 offset1:96
	s_wait_dscnt 0x3
	v_fmac_f32_e32 v32, v24, v28
	v_fmac_f32_e32 v32, v25, v29
	ds_load_b128 v[22:25], v14 offset:80
	ds_load_2addr_b32 v[28:29], v19 offset0:128 offset1:160
	s_wait_dscnt 0x3
	v_fmac_f32_e32 v32, v8, v30
	s_delay_alu instid0(VALU_DEP_1) | instskip(SKIP_3) | instid1(VALU_DEP_1)
	v_fmac_f32_e32 v32, v9, v31
	ds_load_2addr_b32 v[30:31], v19 offset0:192 offset1:224
	s_wait_dscnt 0x3
	v_fmac_f32_e32 v32, v10, v26
	v_fmac_f32_e32 v32, v11, v27
	ds_load_2addr_b32 v[26:27], v20 offset1:32
	ds_load_b128 v[8:11], v14 offset:96
	s_wait_dscnt 0x3
	v_fmac_f32_e32 v32, v22, v28
	s_delay_alu instid0(VALU_DEP_1) | instskip(SKIP_4) | instid1(VALU_DEP_1)
	v_fmac_f32_e32 v32, v23, v29
	s_wait_dscnt 0x2
	v_pk_mul_f32 v[22:23], v[24:25], v[30:31]
	ds_load_2addr_b32 v[28:29], v20 offset0:64 offset1:96
	v_add_f32_e32 v22, v32, v22
	v_add_f32_e32 v30, v22, v23
	ds_load_b128 v[22:25], v14 offset:112
	s_wait_dscnt 0x2
	v_pk_mul_f32 v[8:9], v[8:9], v[26:27]
	ds_load_2addr_b32 v[26:27], v20 offset0:128 offset1:160
	v_add_f32_e32 v8, v30, v8
	s_delay_alu instid0(VALU_DEP_1) | instskip(SKIP_4) | instid1(VALU_DEP_1)
	v_add_f32_e32 v30, v8, v9
	s_wait_dscnt 0x2
	v_pk_mul_f32 v[8:9], v[10:11], v[28:29]
	ds_load_2addr_b32 v[10:11], v20 offset0:192 offset1:224
	v_add_f32_e32 v8, v30, v8
	v_add_f32_e32 v28, v8, v9
	s_wait_dscnt 0x1
	v_pk_mul_f32 v[8:9], v[22:23], v[26:27]
	s_delay_alu instid0(VALU_DEP_1) | instskip(NEXT) | instid1(VALU_DEP_1)
	v_add_f32_e32 v8, v28, v8
	v_add_f32_e32 v22, v8, v9
	s_wait_dscnt 0x0
	v_pk_mul_f32 v[8:9], v[24:25], v[10:11]
	s_delay_alu instid0(VALU_DEP_1) | instskip(NEXT) | instid1(VALU_DEP_1)
	v_add_f32_e32 v8, v22, v8
	v_add_f32_e32 v8, v8, v9
	s_wait_loadcnt 0x0
	s_delay_alu instid0(VALU_DEP_1)
	v_fmac_f32_e32 v21, s3, v8
	flat_store_b32 v[6:7], v21
	s_branch .LBB33_9
.LBB33_16:
	s_endpgm
	.section	.rodata,"a",@progbits
	.p2align	6, 0x0
	.amdhsa_kernel _ZL24rocblas_symm_hemm_kernelILb0ELb0ELi32EPKfPKS1_PKPfEvbiiT2_T3_lllS8_lllT4_llli
		.amdhsa_group_segment_fixed_size 8192
		.amdhsa_private_segment_fixed_size 0
		.amdhsa_kernarg_size 384
		.amdhsa_user_sgpr_count 2
		.amdhsa_user_sgpr_dispatch_ptr 0
		.amdhsa_user_sgpr_queue_ptr 0
		.amdhsa_user_sgpr_kernarg_segment_ptr 1
		.amdhsa_user_sgpr_dispatch_id 0
		.amdhsa_user_sgpr_kernarg_preload_length 0
		.amdhsa_user_sgpr_kernarg_preload_offset 0
		.amdhsa_user_sgpr_private_segment_size 0
		.amdhsa_wavefront_size32 1
		.amdhsa_uses_dynamic_stack 0
		.amdhsa_enable_private_segment 0
		.amdhsa_system_sgpr_workgroup_id_x 1
		.amdhsa_system_sgpr_workgroup_id_y 1
		.amdhsa_system_sgpr_workgroup_id_z 1
		.amdhsa_system_sgpr_workgroup_info 0
		.amdhsa_system_vgpr_workitem_id 1
		.amdhsa_next_free_vgpr 33
		.amdhsa_next_free_sgpr 42
		.amdhsa_named_barrier_count 0
		.amdhsa_reserve_vcc 1
		.amdhsa_float_round_mode_32 0
		.amdhsa_float_round_mode_16_64 0
		.amdhsa_float_denorm_mode_32 3
		.amdhsa_float_denorm_mode_16_64 3
		.amdhsa_fp16_overflow 0
		.amdhsa_memory_ordered 1
		.amdhsa_forward_progress 1
		.amdhsa_inst_pref_size 11
		.amdhsa_round_robin_scheduling 0
		.amdhsa_exception_fp_ieee_invalid_op 0
		.amdhsa_exception_fp_denorm_src 0
		.amdhsa_exception_fp_ieee_div_zero 0
		.amdhsa_exception_fp_ieee_overflow 0
		.amdhsa_exception_fp_ieee_underflow 0
		.amdhsa_exception_fp_ieee_inexact 0
		.amdhsa_exception_int_div_zero 0
	.end_amdhsa_kernel
	.section	.text._ZL24rocblas_symm_hemm_kernelILb0ELb0ELi32EPKfPKS1_PKPfEvbiiT2_T3_lllS8_lllT4_llli,"axG",@progbits,_ZL24rocblas_symm_hemm_kernelILb0ELb0ELi32EPKfPKS1_PKPfEvbiiT2_T3_lllS8_lllT4_llli,comdat
.Lfunc_end33:
	.size	_ZL24rocblas_symm_hemm_kernelILb0ELb0ELi32EPKfPKS1_PKPfEvbiiT2_T3_lllS8_lllT4_llli, .Lfunc_end33-_ZL24rocblas_symm_hemm_kernelILb0ELb0ELi32EPKfPKS1_PKPfEvbiiT2_T3_lllS8_lllT4_llli
                                        ; -- End function
	.set _ZL24rocblas_symm_hemm_kernelILb0ELb0ELi32EPKfPKS1_PKPfEvbiiT2_T3_lllS8_lllT4_llli.num_vgpr, 33
	.set _ZL24rocblas_symm_hemm_kernelILb0ELb0ELi32EPKfPKS1_PKPfEvbiiT2_T3_lllS8_lllT4_llli.num_agpr, 0
	.set _ZL24rocblas_symm_hemm_kernelILb0ELb0ELi32EPKfPKS1_PKPfEvbiiT2_T3_lllS8_lllT4_llli.numbered_sgpr, 42
	.set _ZL24rocblas_symm_hemm_kernelILb0ELb0ELi32EPKfPKS1_PKPfEvbiiT2_T3_lllS8_lllT4_llli.num_named_barrier, 0
	.set _ZL24rocblas_symm_hemm_kernelILb0ELb0ELi32EPKfPKS1_PKPfEvbiiT2_T3_lllS8_lllT4_llli.private_seg_size, 0
	.set _ZL24rocblas_symm_hemm_kernelILb0ELb0ELi32EPKfPKS1_PKPfEvbiiT2_T3_lllS8_lllT4_llli.uses_vcc, 1
	.set _ZL24rocblas_symm_hemm_kernelILb0ELb0ELi32EPKfPKS1_PKPfEvbiiT2_T3_lllS8_lllT4_llli.uses_flat_scratch, 0
	.set _ZL24rocblas_symm_hemm_kernelILb0ELb0ELi32EPKfPKS1_PKPfEvbiiT2_T3_lllS8_lllT4_llli.has_dyn_sized_stack, 0
	.set _ZL24rocblas_symm_hemm_kernelILb0ELb0ELi32EPKfPKS1_PKPfEvbiiT2_T3_lllS8_lllT4_llli.has_recursion, 0
	.set _ZL24rocblas_symm_hemm_kernelILb0ELb0ELi32EPKfPKS1_PKPfEvbiiT2_T3_lllS8_lllT4_llli.has_indirect_call, 0
	.section	.AMDGPU.csdata,"",@progbits
; Kernel info:
; codeLenInByte = 1352
; TotalNumSgprs: 44
; NumVgprs: 33
; ScratchSize: 0
; MemoryBound: 0
; FloatMode: 240
; IeeeMode: 1
; LDSByteSize: 8192 bytes/workgroup (compile time only)
; SGPRBlocks: 0
; VGPRBlocks: 2
; NumSGPRsForWavesPerEU: 44
; NumVGPRsForWavesPerEU: 33
; NamedBarCnt: 0
; Occupancy: 16
; WaveLimiterHint : 1
; COMPUTE_PGM_RSRC2:SCRATCH_EN: 0
; COMPUTE_PGM_RSRC2:USER_SGPR: 2
; COMPUTE_PGM_RSRC2:TRAP_HANDLER: 0
; COMPUTE_PGM_RSRC2:TGID_X_EN: 1
; COMPUTE_PGM_RSRC2:TGID_Y_EN: 1
; COMPUTE_PGM_RSRC2:TGID_Z_EN: 1
; COMPUTE_PGM_RSRC2:TIDIG_COMP_CNT: 1
	.section	.text._ZL24rocblas_symm_hemm_kernelILb0ELb1ELi32EPKfPKS1_PKPfEvbiiT2_T3_lllS8_lllT4_llli,"axG",@progbits,_ZL24rocblas_symm_hemm_kernelILb0ELb1ELi32EPKfPKS1_PKPfEvbiiT2_T3_lllS8_lllT4_llli,comdat
	.globl	_ZL24rocblas_symm_hemm_kernelILb0ELb1ELi32EPKfPKS1_PKPfEvbiiT2_T3_lllS8_lllT4_llli ; -- Begin function _ZL24rocblas_symm_hemm_kernelILb0ELb1ELi32EPKfPKS1_PKPfEvbiiT2_T3_lllS8_lllT4_llli
	.p2align	8
	.type	_ZL24rocblas_symm_hemm_kernelILb0ELb1ELi32EPKfPKS1_PKPfEvbiiT2_T3_lllS8_lllT4_llli,@function
_ZL24rocblas_symm_hemm_kernelILb0ELb1ELi32EPKfPKS1_PKPfEvbiiT2_T3_lllS8_lllT4_llli: ; @_ZL24rocblas_symm_hemm_kernelILb0ELb1ELi32EPKfPKS1_PKPfEvbiiT2_T3_lllS8_lllT4_llli
; %bb.0:
	s_load_b256 s[4:11], s[0:1], 0x10
	s_wait_kmcnt 0x0
	s_load_b32 s23, s[4:5], 0x0
	s_wait_kmcnt 0x0
	s_cmp_eq_f32 s23, 0
	s_cbranch_scc1 .LBB34_16
; %bb.1:
	s_load_b32 s26, s[0:1], 0x78
	s_bfe_u32 s2, ttmp6, 0x40014
	s_lshr_b32 s3, ttmp7, 16
	s_add_co_i32 s2, s2, 1
	s_bfe_u32 s4, ttmp6, 0x40008
	s_mul_i32 s2, s3, s2
	s_getreg_b32 s29, hwreg(HW_REG_IB_STS2, 6, 4)
	s_add_co_i32 s4, s4, s2
	s_cmp_eq_u32 s29, 0
	s_cselect_b32 s27, s3, s4
	s_wait_kmcnt 0x0
	s_cmp_ge_u32 s27, s26
	s_cbranch_scc1 .LBB34_16
; %bb.2:
	s_clause 0x4
	s_load_b96 s[20:22], s[0:1], 0x0
	s_load_b128 s[12:15], s[0:1], 0x38
	s_load_b64 s[2:3], s[0:1], 0x68
	s_load_b64 s[4:5], s[0:1], 0x48
	s_load_b128 s[16:19], s[0:1], 0x58
	s_add_nc_u64 s[24:25], s[0:1], 0x80
	v_and_b32_e32 v14, 0x3ff, v0
	v_bfe_u32 v15, v0, 10, 10
	s_delay_alu instid0(VALU_DEP_1) | instskip(NEXT) | instid1(VALU_DEP_1)
	v_dual_lshlrev_b32 v16, 7, v14 :: v_dual_lshlrev_b32 v0, 2, v15
	v_add_nc_u32_e32 v17, v16, v0
	v_or_b32_e32 v18, 0x1000, v0
	s_wait_kmcnt 0x0
	s_bitcmp1_b32 s20, 0
	s_delay_alu instid0(VALU_DEP_1)
	v_add_nc_u32_e32 v19, v18, v16
	s_cselect_b32 s0, -1, 0
	s_add_co_i32 s1, s22, -1
	s_bfe_u32 s28, ttmp6, 0x4000c
	s_bfe_u32 s31, ttmp6, 0x40010
	s_ashr_i32 s34, s1, 31
	s_and_b32 s30, ttmp7, 0xffff
	s_add_co_i32 s28, s28, 1
	s_add_co_i32 s31, s31, 1
	s_lshr_b32 s34, s34, 27
	s_and_b32 s20, ttmp6, 15
	s_bfe_u32 s33, ttmp6, 0x40004
	s_mul_i32 s28, ttmp9, s28
	s_mul_i32 s31, s30, s31
	s_add_co_i32 s1, s1, s34
	s_add_co_i32 s20, s20, s28
	;; [unrolled: 1-line block ×3, first 2 shown]
	s_ashr_i32 s28, s1, 5
	s_cmp_eq_u32 s29, 0
	v_add_nc_u32_e32 v20, 0x400, v18
	s_cselect_b32 s1, ttmp9, s20
	s_cselect_b32 s29, s30, s33
	v_lshl_add_u32 v0, s1, 5, v14
	s_cmp_le_i32 s29, s28
	v_add_nc_u32_e32 v21, 0x800, v18
	v_add_nc_u32_e32 v22, 0xc00, v18
	s_cselect_b32 s30, -1, 0
	v_ashrrev_i32_e32 v1, 31, v0
	v_cmp_gt_i32_e64 s1, s21, v0
	s_cmp_gt_i32 s22, 0
	s_cselect_b32 s31, -1, 0
	v_lshlrev_b64_e32 v[0:1], 2, v[0:1]
	s_lshl_b64 s[8:9], s[8:9], 2
	s_lshl_b64 s[18:19], s[18:19], 2
	;; [unrolled: 1-line block ×3, first 2 shown]
	s_branch .LBB34_4
.LBB34_3:                               ;   in Loop: Header=BB34_4 Depth=1
	s_add_co_i32 s27, s27, 0x10000
	s_delay_alu instid0(SALU_CYCLE_1)
	s_cmp_lt_u32 s27, s26
	s_cbranch_scc0 .LBB34_16
.LBB34_4:                               ; =>This Loop Header: Depth=1
                                        ;     Child Loop BB34_7 Depth 2
                                        ;       Child Loop BB34_10 Depth 3
	s_and_not1_b32 vcc_lo, exec_lo, s30
	s_cbranch_vccnz .LBB34_3
; %bb.5:                                ;   in Loop: Header=BB34_4 Depth=1
	s_load_b64 s[20:21], s[12:13], s27 offset:0x0 scale_offset
	s_load_b64 s[34:35], s[16:17], s27 offset:0x0 scale_offset
	;; [unrolled: 1-line block ×3, first 2 shown]
	s_load_b32 s33, s[24:25], 0x4
	s_wait_kmcnt 0x0
	s_add_nc_u64 s[20:21], s[20:21], s[14:15]
	s_add_nc_u64 s[34:35], s[34:35], s[18:19]
	v_add_nc_u64_e32 v[2:3], s[20:21], v[0:1]
	v_add_nc_u64_e32 v[4:5], s[34:35], v[0:1]
	s_add_nc_u64 s[20:21], s[36:37], s[8:9]
	s_mov_b32 s34, s29
	s_branch .LBB34_7
.LBB34_6:                               ;   in Loop: Header=BB34_7 Depth=2
	s_add_co_i32 s34, s34, s33
	s_delay_alu instid0(SALU_CYCLE_1)
	s_cmp_gt_i32 s34, s28
	s_cbranch_scc1 .LBB34_3
.LBB34_7:                               ;   Parent Loop BB34_4 Depth=1
                                        ; =>  This Loop Header: Depth=2
                                        ;       Child Loop BB34_10 Depth 3
	s_and_not1_b32 vcc_lo, exec_lo, s31
	s_cbranch_vccnz .LBB34_6
; %bb.8:                                ;   in Loop: Header=BB34_7 Depth=2
	v_lshl_add_u32 v6, s34, 5, v15
	s_mov_b32 s36, 0
	s_delay_alu instid0(VALU_DEP_1) | instskip(SKIP_1) | instid1(VALU_DEP_2)
	v_ashrrev_i32_e32 v7, 31, v6
	v_cmp_gt_i32_e32 vcc_lo, s22, v6
	v_mul_u64_e32 v[8:9], s[2:3], v[6:7]
	s_and_b32 s35, s1, vcc_lo
	s_delay_alu instid0(VALU_DEP_1)
	v_lshl_add_u64 v[8:9], v[8:9], 2, v[4:5]
	s_branch .LBB34_10
.LBB34_9:                               ;   in Loop: Header=BB34_10 Depth=3
	s_wait_xcnt 0x0
	s_or_b32 exec_lo, exec_lo, s37
	s_add_co_i32 s36, s36, 32
	s_wait_storecnt_dscnt 0x0
	s_cmp_ge_i32 s36, s22
	s_barrier_signal -1
	s_barrier_wait -1
	s_cbranch_scc1 .LBB34_6
.LBB34_10:                              ;   Parent Loop BB34_4 Depth=1
                                        ;     Parent Loop BB34_7 Depth=2
                                        ; =>    This Inner Loop Header: Depth=3
	v_dual_mov_b32 v7, 0 :: v_dual_add_nc_u32 v10, s36, v15
	v_mov_b32_e32 v11, 0
	s_delay_alu instid0(VALU_DEP_2) | instskip(SKIP_1) | instid1(SALU_CYCLE_1)
	v_cmp_gt_i32_e32 vcc_lo, s22, v10
	s_and_b32 s38, s1, vcc_lo
	s_and_saveexec_b32 s37, s38
	s_cbranch_execz .LBB34_12
; %bb.11:                               ;   in Loop: Header=BB34_10 Depth=3
	v_ashrrev_i32_e32 v11, 31, v10
	s_delay_alu instid0(VALU_DEP_1) | instskip(NEXT) | instid1(VALU_DEP_1)
	v_mul_u64_e32 v[10:11], s[4:5], v[10:11]
	v_lshl_add_u64 v[10:11], v[10:11], 2, v[2:3]
	flat_load_b32 v11, v[10:11]
.LBB34_12:                              ;   in Loop: Header=BB34_10 Depth=3
	s_wait_xcnt 0x0
	s_or_b32 exec_lo, exec_lo, s37
	v_add_nc_u32_e32 v12, s36, v14
	s_mov_b32 s37, exec_lo
	s_wait_loadcnt_dscnt 0x0
	ds_store_b32 v17, v11
	v_dual_cndmask_b32 v10, v6, v12, s0 :: v_dual_cndmask_b32 v13, v12, v6, s0
	s_delay_alu instid0(VALU_DEP_1) | instskip(SKIP_1) | instid1(VALU_DEP_1)
	v_cmp_gt_i32_e32 vcc_lo, v10, v13
	v_dual_cndmask_b32 v10, v12, v6, vcc_lo :: v_dual_cndmask_b32 v12, v6, v12, vcc_lo
	v_max_i32_e32 v13, v10, v12
	s_delay_alu instid0(VALU_DEP_1)
	v_cmpx_gt_i32_e64 s22, v13
	s_cbranch_execz .LBB34_14
; %bb.13:                               ;   in Loop: Header=BB34_10 Depth=3
	v_dual_ashrrev_i32 v13, 31, v12 :: v_dual_ashrrev_i32 v11, 31, v10
	s_delay_alu instid0(VALU_DEP_1) | instskip(NEXT) | instid1(VALU_DEP_1)
	v_mul_u64_e32 v[12:13], s[10:11], v[12:13]
	v_lshl_add_u64 v[12:13], v[12:13], 2, s[20:21]
	s_delay_alu instid0(VALU_DEP_1)
	v_lshl_add_u64 v[10:11], v[10:11], 2, v[12:13]
	flat_load_b32 v7, v[10:11]
.LBB34_14:                              ;   in Loop: Header=BB34_10 Depth=3
	s_wait_xcnt 0x0
	s_or_b32 exec_lo, exec_lo, s37
	s_wait_loadcnt_dscnt 0x0
	ds_store_b32 v19, v7
	s_wait_dscnt 0x0
	s_barrier_signal -1
	s_barrier_wait -1
	s_and_saveexec_b32 s37, s35
	s_cbranch_execz .LBB34_9
; %bb.15:                               ;   in Loop: Header=BB34_10 Depth=3
	flat_load_b32 v7, v[8:9]
	ds_load_b128 v[10:13], v16
	ds_load_2addr_b32 v[28:29], v18 offset1:32
	ds_load_2addr_b32 v[30:31], v18 offset0:64 offset1:96
	ds_load_b128 v[24:27], v16 offset:16
	ds_load_2addr_b32 v[32:33], v18 offset0:128 offset1:160
	s_wait_dscnt 0x3
	v_fma_f32 v23, v10, v28, 0
	s_delay_alu instid0(VALU_DEP_1) | instskip(SKIP_3) | instid1(VALU_DEP_1)
	v_fmac_f32_e32 v23, v11, v29
	ds_load_2addr_b32 v[28:29], v18 offset0:192 offset1:224
	s_wait_dscnt 0x3
	v_fmac_f32_e32 v23, v12, v30
	v_fmac_f32_e32 v23, v13, v31
	ds_load_b128 v[10:13], v16 offset:32
	ds_load_2addr_b32 v[30:31], v20 offset1:32
	s_wait_dscnt 0x3
	v_fmac_f32_e32 v23, v24, v32
	s_delay_alu instid0(VALU_DEP_1) | instskip(SKIP_3) | instid1(VALU_DEP_1)
	v_fmac_f32_e32 v23, v25, v33
	ds_load_2addr_b32 v[32:33], v20 offset0:64 offset1:96
	s_wait_dscnt 0x3
	v_fmac_f32_e32 v23, v26, v28
	v_fmac_f32_e32 v23, v27, v29
	ds_load_b128 v[24:27], v16 offset:48
	ds_load_2addr_b32 v[28:29], v20 offset0:128 offset1:160
	s_wait_dscnt 0x3
	v_fmac_f32_e32 v23, v10, v30
	s_delay_alu instid0(VALU_DEP_1) | instskip(SKIP_3) | instid1(VALU_DEP_1)
	v_fmac_f32_e32 v23, v11, v31
	ds_load_2addr_b32 v[30:31], v20 offset0:192 offset1:224
	s_wait_dscnt 0x3
	v_fmac_f32_e32 v23, v12, v32
	v_fmac_f32_e32 v23, v13, v33
	ds_load_b128 v[10:13], v16 offset:64
	ds_load_2addr_b32 v[32:33], v21 offset1:32
	s_wait_dscnt 0x3
	v_fmac_f32_e32 v23, v24, v28
	s_delay_alu instid0(VALU_DEP_1) | instskip(SKIP_3) | instid1(VALU_DEP_1)
	v_fmac_f32_e32 v23, v25, v29
	ds_load_2addr_b32 v[28:29], v21 offset0:64 offset1:96
	s_wait_dscnt 0x3
	v_fmac_f32_e32 v23, v26, v30
	v_fmac_f32_e32 v23, v27, v31
	ds_load_b128 v[24:27], v16 offset:80
	ds_load_2addr_b32 v[30:31], v21 offset0:128 offset1:160
	s_wait_dscnt 0x3
	v_fmac_f32_e32 v23, v10, v32
	s_delay_alu instid0(VALU_DEP_1) | instskip(SKIP_3) | instid1(VALU_DEP_1)
	v_fmac_f32_e32 v23, v11, v33
	ds_load_2addr_b32 v[32:33], v21 offset0:192 offset1:224
	s_wait_dscnt 0x3
	v_fmac_f32_e32 v23, v12, v28
	v_fmac_f32_e32 v23, v13, v29
	ds_load_2addr_b32 v[28:29], v22 offset1:32
	ds_load_b128 v[10:13], v16 offset:96
	s_wait_dscnt 0x3
	v_fmac_f32_e32 v23, v24, v30
	s_delay_alu instid0(VALU_DEP_1) | instskip(SKIP_4) | instid1(VALU_DEP_1)
	v_fmac_f32_e32 v23, v25, v31
	s_wait_dscnt 0x2
	v_pk_mul_f32 v[24:25], v[26:27], v[32:33]
	ds_load_2addr_b32 v[30:31], v22 offset0:64 offset1:96
	v_add_f32_e32 v23, v23, v24
	v_add_f32_e32 v23, v23, v25
	ds_load_b128 v[24:27], v16 offset:112
	s_wait_dscnt 0x2
	v_pk_mul_f32 v[10:11], v[10:11], v[28:29]
	ds_load_2addr_b32 v[28:29], v22 offset0:128 offset1:160
	v_add_f32_e32 v10, v23, v10
	s_delay_alu instid0(VALU_DEP_1) | instskip(SKIP_4) | instid1(VALU_DEP_1)
	v_add_f32_e32 v23, v10, v11
	s_wait_dscnt 0x2
	v_pk_mul_f32 v[10:11], v[12:13], v[30:31]
	ds_load_2addr_b32 v[12:13], v22 offset0:192 offset1:224
	v_add_f32_e32 v10, v23, v10
	v_add_f32_e32 v23, v10, v11
	s_wait_dscnt 0x1
	v_pk_mul_f32 v[10:11], v[24:25], v[28:29]
	s_delay_alu instid0(VALU_DEP_1) | instskip(NEXT) | instid1(VALU_DEP_1)
	v_add_f32_e32 v10, v23, v10
	v_add_f32_e32 v23, v10, v11
	s_wait_dscnt 0x0
	v_pk_mul_f32 v[10:11], v[26:27], v[12:13]
	s_delay_alu instid0(VALU_DEP_1) | instskip(NEXT) | instid1(VALU_DEP_1)
	v_add_f32_e32 v10, v23, v10
	v_add_f32_e32 v10, v10, v11
	s_wait_loadcnt 0x0
	s_delay_alu instid0(VALU_DEP_1)
	v_fmac_f32_e32 v7, s23, v10
	flat_store_b32 v[8:9], v7
	s_branch .LBB34_9
.LBB34_16:
	s_endpgm
	.section	.rodata,"a",@progbits
	.p2align	6, 0x0
	.amdhsa_kernel _ZL24rocblas_symm_hemm_kernelILb0ELb1ELi32EPKfPKS1_PKPfEvbiiT2_T3_lllS8_lllT4_llli
		.amdhsa_group_segment_fixed_size 8192
		.amdhsa_private_segment_fixed_size 0
		.amdhsa_kernarg_size 384
		.amdhsa_user_sgpr_count 2
		.amdhsa_user_sgpr_dispatch_ptr 0
		.amdhsa_user_sgpr_queue_ptr 0
		.amdhsa_user_sgpr_kernarg_segment_ptr 1
		.amdhsa_user_sgpr_dispatch_id 0
		.amdhsa_user_sgpr_kernarg_preload_length 0
		.amdhsa_user_sgpr_kernarg_preload_offset 0
		.amdhsa_user_sgpr_private_segment_size 0
		.amdhsa_wavefront_size32 1
		.amdhsa_uses_dynamic_stack 0
		.amdhsa_enable_private_segment 0
		.amdhsa_system_sgpr_workgroup_id_x 1
		.amdhsa_system_sgpr_workgroup_id_y 1
		.amdhsa_system_sgpr_workgroup_id_z 1
		.amdhsa_system_sgpr_workgroup_info 0
		.amdhsa_system_vgpr_workitem_id 1
		.amdhsa_next_free_vgpr 34
		.amdhsa_next_free_sgpr 39
		.amdhsa_named_barrier_count 0
		.amdhsa_reserve_vcc 1
		.amdhsa_float_round_mode_32 0
		.amdhsa_float_round_mode_16_64 0
		.amdhsa_float_denorm_mode_32 3
		.amdhsa_float_denorm_mode_16_64 3
		.amdhsa_fp16_overflow 0
		.amdhsa_memory_ordered 1
		.amdhsa_forward_progress 1
		.amdhsa_inst_pref_size 11
		.amdhsa_round_robin_scheduling 0
		.amdhsa_exception_fp_ieee_invalid_op 0
		.amdhsa_exception_fp_denorm_src 0
		.amdhsa_exception_fp_ieee_div_zero 0
		.amdhsa_exception_fp_ieee_overflow 0
		.amdhsa_exception_fp_ieee_underflow 0
		.amdhsa_exception_fp_ieee_inexact 0
		.amdhsa_exception_int_div_zero 0
	.end_amdhsa_kernel
	.section	.text._ZL24rocblas_symm_hemm_kernelILb0ELb1ELi32EPKfPKS1_PKPfEvbiiT2_T3_lllS8_lllT4_llli,"axG",@progbits,_ZL24rocblas_symm_hemm_kernelILb0ELb1ELi32EPKfPKS1_PKPfEvbiiT2_T3_lllS8_lllT4_llli,comdat
.Lfunc_end34:
	.size	_ZL24rocblas_symm_hemm_kernelILb0ELb1ELi32EPKfPKS1_PKPfEvbiiT2_T3_lllS8_lllT4_llli, .Lfunc_end34-_ZL24rocblas_symm_hemm_kernelILb0ELb1ELi32EPKfPKS1_PKPfEvbiiT2_T3_lllS8_lllT4_llli
                                        ; -- End function
	.set _ZL24rocblas_symm_hemm_kernelILb0ELb1ELi32EPKfPKS1_PKPfEvbiiT2_T3_lllS8_lllT4_llli.num_vgpr, 34
	.set _ZL24rocblas_symm_hemm_kernelILb0ELb1ELi32EPKfPKS1_PKPfEvbiiT2_T3_lllS8_lllT4_llli.num_agpr, 0
	.set _ZL24rocblas_symm_hemm_kernelILb0ELb1ELi32EPKfPKS1_PKPfEvbiiT2_T3_lllS8_lllT4_llli.numbered_sgpr, 39
	.set _ZL24rocblas_symm_hemm_kernelILb0ELb1ELi32EPKfPKS1_PKPfEvbiiT2_T3_lllS8_lllT4_llli.num_named_barrier, 0
	.set _ZL24rocblas_symm_hemm_kernelILb0ELb1ELi32EPKfPKS1_PKPfEvbiiT2_T3_lllS8_lllT4_llli.private_seg_size, 0
	.set _ZL24rocblas_symm_hemm_kernelILb0ELb1ELi32EPKfPKS1_PKPfEvbiiT2_T3_lllS8_lllT4_llli.uses_vcc, 1
	.set _ZL24rocblas_symm_hemm_kernelILb0ELb1ELi32EPKfPKS1_PKPfEvbiiT2_T3_lllS8_lllT4_llli.uses_flat_scratch, 0
	.set _ZL24rocblas_symm_hemm_kernelILb0ELb1ELi32EPKfPKS1_PKPfEvbiiT2_T3_lllS8_lllT4_llli.has_dyn_sized_stack, 0
	.set _ZL24rocblas_symm_hemm_kernelILb0ELb1ELi32EPKfPKS1_PKPfEvbiiT2_T3_lllS8_lllT4_llli.has_recursion, 0
	.set _ZL24rocblas_symm_hemm_kernelILb0ELb1ELi32EPKfPKS1_PKPfEvbiiT2_T3_lllS8_lllT4_llli.has_indirect_call, 0
	.section	.AMDGPU.csdata,"",@progbits
; Kernel info:
; codeLenInByte = 1324
; TotalNumSgprs: 41
; NumVgprs: 34
; ScratchSize: 0
; MemoryBound: 0
; FloatMode: 240
; IeeeMode: 1
; LDSByteSize: 8192 bytes/workgroup (compile time only)
; SGPRBlocks: 0
; VGPRBlocks: 2
; NumSGPRsForWavesPerEU: 41
; NumVGPRsForWavesPerEU: 34
; NamedBarCnt: 0
; Occupancy: 16
; WaveLimiterHint : 1
; COMPUTE_PGM_RSRC2:SCRATCH_EN: 0
; COMPUTE_PGM_RSRC2:USER_SGPR: 2
; COMPUTE_PGM_RSRC2:TRAP_HANDLER: 0
; COMPUTE_PGM_RSRC2:TGID_X_EN: 1
; COMPUTE_PGM_RSRC2:TGID_Y_EN: 1
; COMPUTE_PGM_RSRC2:TGID_Z_EN: 1
; COMPUTE_PGM_RSRC2:TIDIG_COMP_CNT: 1
	.section	.text._ZL25rocblas_symm_scale_kernelILi128ELi8EfPKPfEviiT1_T2_llli,"axG",@progbits,_ZL25rocblas_symm_scale_kernelILi128ELi8EfPKPfEviiT1_T2_llli,comdat
	.globl	_ZL25rocblas_symm_scale_kernelILi128ELi8EfPKPfEviiT1_T2_llli ; -- Begin function _ZL25rocblas_symm_scale_kernelILi128ELi8EfPKPfEviiT1_T2_llli
	.p2align	8
	.type	_ZL25rocblas_symm_scale_kernelILi128ELi8EfPKPfEviiT1_T2_llli,@function
_ZL25rocblas_symm_scale_kernelILi128ELi8EfPKPfEviiT1_T2_llli: ; @_ZL25rocblas_symm_scale_kernelILi128ELi8EfPKPfEviiT1_T2_llli
; %bb.0:
	s_load_b96 s[8:10], s[0:1], 0x0
	s_wait_kmcnt 0x0
	s_cmp_eq_f32 s10, 1.0
	s_cbranch_scc1 .LBB35_10
; %bb.1:
	s_load_b32 s11, s[0:1], 0x30
	s_bfe_u32 s2, ttmp6, 0x40014
	s_lshr_b32 s3, ttmp7, 16
	s_add_co_i32 s2, s2, 1
	s_bfe_u32 s5, ttmp6, 0x40008
	s_mul_i32 s4, s3, s2
	s_getreg_b32 s2, hwreg(HW_REG_IB_STS2, 6, 4)
	s_add_co_i32 s5, s5, s4
	s_cmp_eq_u32 s2, 0
	s_cselect_b32 s14, s3, s5
	s_mov_b32 s3, 0
	s_wait_kmcnt 0x0
	s_cmp_ge_u32 s14, s11
	s_cbranch_scc1 .LBB35_10
; %bb.2:
	s_load_b64 s[18:19], s[0:1], 0x20
	s_bfe_u32 s4, ttmp6, 0x40010
	s_bfe_u32 s6, ttmp6, 0x4000c
	s_and_b32 s5, ttmp7, 0xffff
	s_add_co_i32 s4, s4, 1
	s_add_co_i32 s6, s6, 1
	s_mul_i32 s4, s5, s4
	s_bfe_u32 s7, ttmp6, 0x40004
	s_and_b32 s12, ttmp6, 15
	s_mul_i32 s6, ttmp9, s6
	s_add_co_i32 s7, s7, s4
	s_add_co_i32 s12, s12, s6
	v_bfe_u32 v1, v0, 10, 10
	s_cmp_eq_u32 s2, 0
	v_mov_b32_e32 v3, 0
	s_cselect_b32 s2, s5, s7
	s_load_b128 s[4:7], s[0:1], 0x10
	v_lshl_add_u32 v2, s2, 3, v1
	v_and_b32_e32 v0, 0x3ff, v0
	s_cselect_b32 s2, ttmp9, s12
	s_mov_b32 s12, s9
	s_ashr_i32 s13, s9, 31
	s_wait_kmcnt 0x0
	v_mul_u64_e32 v[4:5], s[18:19], v[2:3]
	v_lshl_add_u32 v0, s2, 7, v0
	v_cmp_gt_i64_e32 vcc_lo, s[12:13], v[2:3]
	v_mov_b32_e32 v1, v3
	s_add_nc_u64 s[0:1], s[0:1], 56
	s_delay_alu instid0(VALU_DEP_3) | instskip(SKIP_4) | instid1(SALU_CYCLE_1)
	v_cmp_gt_u32_e64 s2, s8, v0
	s_and_b32 s15, s2, vcc_lo
	s_cmp_neq_f32 s10, 0
	s_cselect_b32 s16, -1, 0
	s_lshl_b64 s[6:7], s[6:7], 2
	v_lshl_add_u64 v[4:5], v[4:5], 2, s[6:7]
	s_lshl_b64 s[6:7], s[18:19], 2
	s_delay_alu instid0(VALU_DEP_1)
	v_lshl_add_u64 v[0:1], v[0:1], 2, v[4:5]
	s_branch .LBB35_4
.LBB35_3:                               ;   in Loop: Header=BB35_4 Depth=1
	s_or_b32 exec_lo, exec_lo, s17
	s_add_co_i32 s14, s14, 0x10000
	s_delay_alu instid0(SALU_CYCLE_1)
	s_cmp_lt_u32 s14, s11
	s_cbranch_scc0 .LBB35_10
.LBB35_4:                               ; =>This Loop Header: Depth=1
                                        ;     Child Loop BB35_8 Depth 2
	s_and_saveexec_b32 s17, s15
	s_cbranch_execz .LBB35_3
; %bb.5:                                ;   in Loop: Header=BB35_4 Depth=1
	s_load_b64 s[8:9], s[4:5], s14 offset:0x0 scale_offset
	s_load_b32 s2, s[0:1], 0x4
	v_mov_b64_e32 v[6:7], v[2:3]
	s_mov_b32 s18, 0
	s_wait_kmcnt 0x0
	v_add_nc_u64_e32 v[4:5], s[8:9], v[0:1]
	s_lshl_b32 s2, s2, 3
	s_delay_alu instid0(SALU_CYCLE_1)
	s_mul_u64 s[8:9], s[6:7], s[2:3]
	s_branch .LBB35_8
.LBB35_6:                               ;   in Loop: Header=BB35_8 Depth=2
	flat_load_b32 v8, v[4:5]
	s_wait_loadcnt_dscnt 0x0
	v_mul_f32_e32 v8, s10, v8
.LBB35_7:                               ;   in Loop: Header=BB35_8 Depth=2
	v_add_nc_u64_e32 v[6:7], s[2:3], v[6:7]
	flat_store_b32 v[4:5], v8
	s_wait_xcnt 0x0
	v_add_nc_u64_e32 v[4:5], s[8:9], v[4:5]
	v_cmp_le_i64_e32 vcc_lo, s[12:13], v[6:7]
	s_or_b32 s18, vcc_lo, s18
	s_delay_alu instid0(SALU_CYCLE_1)
	s_and_not1_b32 exec_lo, exec_lo, s18
	s_cbranch_execz .LBB35_3
.LBB35_8:                               ;   Parent Loop BB35_4 Depth=1
                                        ; =>  This Inner Loop Header: Depth=2
	s_and_not1_b32 vcc_lo, exec_lo, s16
	s_cbranch_vccz .LBB35_6
; %bb.9:                                ;   in Loop: Header=BB35_8 Depth=2
	v_mov_b32_e32 v8, 0
	s_branch .LBB35_7
.LBB35_10:
	s_endpgm
	.section	.rodata,"a",@progbits
	.p2align	6, 0x0
	.amdhsa_kernel _ZL25rocblas_symm_scale_kernelILi128ELi8EfPKPfEviiT1_T2_llli
		.amdhsa_group_segment_fixed_size 0
		.amdhsa_private_segment_fixed_size 0
		.amdhsa_kernarg_size 312
		.amdhsa_user_sgpr_count 2
		.amdhsa_user_sgpr_dispatch_ptr 0
		.amdhsa_user_sgpr_queue_ptr 0
		.amdhsa_user_sgpr_kernarg_segment_ptr 1
		.amdhsa_user_sgpr_dispatch_id 0
		.amdhsa_user_sgpr_kernarg_preload_length 0
		.amdhsa_user_sgpr_kernarg_preload_offset 0
		.amdhsa_user_sgpr_private_segment_size 0
		.amdhsa_wavefront_size32 1
		.amdhsa_uses_dynamic_stack 0
		.amdhsa_enable_private_segment 0
		.amdhsa_system_sgpr_workgroup_id_x 1
		.amdhsa_system_sgpr_workgroup_id_y 1
		.amdhsa_system_sgpr_workgroup_id_z 1
		.amdhsa_system_sgpr_workgroup_info 0
		.amdhsa_system_vgpr_workitem_id 1
		.amdhsa_next_free_vgpr 9
		.amdhsa_next_free_sgpr 20
		.amdhsa_named_barrier_count 0
		.amdhsa_reserve_vcc 1
		.amdhsa_float_round_mode_32 0
		.amdhsa_float_round_mode_16_64 0
		.amdhsa_float_denorm_mode_32 3
		.amdhsa_float_denorm_mode_16_64 3
		.amdhsa_fp16_overflow 0
		.amdhsa_memory_ordered 1
		.amdhsa_forward_progress 1
		.amdhsa_inst_pref_size 4
		.amdhsa_round_robin_scheduling 0
		.amdhsa_exception_fp_ieee_invalid_op 0
		.amdhsa_exception_fp_denorm_src 0
		.amdhsa_exception_fp_ieee_div_zero 0
		.amdhsa_exception_fp_ieee_overflow 0
		.amdhsa_exception_fp_ieee_underflow 0
		.amdhsa_exception_fp_ieee_inexact 0
		.amdhsa_exception_int_div_zero 0
	.end_amdhsa_kernel
	.section	.text._ZL25rocblas_symm_scale_kernelILi128ELi8EfPKPfEviiT1_T2_llli,"axG",@progbits,_ZL25rocblas_symm_scale_kernelILi128ELi8EfPKPfEviiT1_T2_llli,comdat
.Lfunc_end35:
	.size	_ZL25rocblas_symm_scale_kernelILi128ELi8EfPKPfEviiT1_T2_llli, .Lfunc_end35-_ZL25rocblas_symm_scale_kernelILi128ELi8EfPKPfEviiT1_T2_llli
                                        ; -- End function
	.set _ZL25rocblas_symm_scale_kernelILi128ELi8EfPKPfEviiT1_T2_llli.num_vgpr, 9
	.set _ZL25rocblas_symm_scale_kernelILi128ELi8EfPKPfEviiT1_T2_llli.num_agpr, 0
	.set _ZL25rocblas_symm_scale_kernelILi128ELi8EfPKPfEviiT1_T2_llli.numbered_sgpr, 20
	.set _ZL25rocblas_symm_scale_kernelILi128ELi8EfPKPfEviiT1_T2_llli.num_named_barrier, 0
	.set _ZL25rocblas_symm_scale_kernelILi128ELi8EfPKPfEviiT1_T2_llli.private_seg_size, 0
	.set _ZL25rocblas_symm_scale_kernelILi128ELi8EfPKPfEviiT1_T2_llli.uses_vcc, 1
	.set _ZL25rocblas_symm_scale_kernelILi128ELi8EfPKPfEviiT1_T2_llli.uses_flat_scratch, 0
	.set _ZL25rocblas_symm_scale_kernelILi128ELi8EfPKPfEviiT1_T2_llli.has_dyn_sized_stack, 0
	.set _ZL25rocblas_symm_scale_kernelILi128ELi8EfPKPfEviiT1_T2_llli.has_recursion, 0
	.set _ZL25rocblas_symm_scale_kernelILi128ELi8EfPKPfEviiT1_T2_llli.has_indirect_call, 0
	.section	.AMDGPU.csdata,"",@progbits
; Kernel info:
; codeLenInByte = 460
; TotalNumSgprs: 22
; NumVgprs: 9
; ScratchSize: 0
; MemoryBound: 0
; FloatMode: 240
; IeeeMode: 1
; LDSByteSize: 0 bytes/workgroup (compile time only)
; SGPRBlocks: 0
; VGPRBlocks: 0
; NumSGPRsForWavesPerEU: 22
; NumVGPRsForWavesPerEU: 9
; NamedBarCnt: 0
; Occupancy: 16
; WaveLimiterHint : 0
; COMPUTE_PGM_RSRC2:SCRATCH_EN: 0
; COMPUTE_PGM_RSRC2:USER_SGPR: 2
; COMPUTE_PGM_RSRC2:TRAP_HANDLER: 0
; COMPUTE_PGM_RSRC2:TGID_X_EN: 1
; COMPUTE_PGM_RSRC2:TGID_Y_EN: 1
; COMPUTE_PGM_RSRC2:TGID_Z_EN: 1
; COMPUTE_PGM_RSRC2:TIDIG_COMP_CNT: 1
	.section	.text._ZL24rocblas_symm_hemm_kernelILb0ELb0ELi32EfPKPKfPKPfEvbiiT2_T3_lllS8_lllT4_llli,"axG",@progbits,_ZL24rocblas_symm_hemm_kernelILb0ELb0ELi32EfPKPKfPKPfEvbiiT2_T3_lllS8_lllT4_llli,comdat
	.globl	_ZL24rocblas_symm_hemm_kernelILb0ELb0ELi32EfPKPKfPKPfEvbiiT2_T3_lllS8_lllT4_llli ; -- Begin function _ZL24rocblas_symm_hemm_kernelILb0ELb0ELi32EfPKPKfPKPfEvbiiT2_T3_lllS8_lllT4_llli
	.p2align	8
	.type	_ZL24rocblas_symm_hemm_kernelILb0ELb0ELi32EfPKPKfPKPfEvbiiT2_T3_lllS8_lllT4_llli,@function
_ZL24rocblas_symm_hemm_kernelILb0ELb0ELi32EfPKPKfPKPfEvbiiT2_T3_lllS8_lllT4_llli: ; @_ZL24rocblas_symm_hemm_kernelILb0ELb0ELi32EfPKPKfPKPfEvbiiT2_T3_lllS8_lllT4_llli
; %bb.0:
	s_load_b128 s[4:7], s[0:1], 0x0
	s_wait_kmcnt 0x0
	s_cmp_eq_f32 s7, 0
	s_cbranch_scc1 .LBB36_16
; %bb.1:
	s_load_b32 s33, s[0:1], 0x70
	s_bfe_u32 s2, ttmp6, 0x40014
	s_lshr_b32 s8, ttmp7, 16
	s_add_co_i32 s2, s2, 1
	s_bfe_u32 s9, ttmp6, 0x40008
	s_mul_i32 s2, s8, s2
	s_getreg_b32 s3, hwreg(HW_REG_IB_STS2, 6, 4)
	s_add_co_i32 s9, s9, s2
	s_cmp_eq_u32 s3, 0
	s_cselect_b32 s34, s8, s9
	s_wait_kmcnt 0x0
	s_cmp_ge_u32 s34, s33
	s_cbranch_scc1 .LBB36_16
; %bb.2:
	s_bitcmp1_b32 s4, 0
	s_clause 0x1
	s_load_b128 s[8:11], s[0:1], 0x10
	s_load_b64 s[20:21], s[0:1], 0x20
	s_cselect_b32 s2, -1, 0
	s_add_co_i32 s4, s6, -1
	s_bfe_u32 s26, ttmp6, 0x4000c
	s_ashr_i32 s12, s4, 31
	s_bfe_u32 s28, ttmp6, 0x40010
	s_lshr_b32 s16, s12, 27
	s_clause 0x1
	s_load_b128 s[12:15], s[0:1], 0x30
	s_load_b64 s[22:23], s[0:1], 0x40
	s_add_co_i32 s4, s4, s16
	s_clause 0x1
	s_load_b64 s[24:25], s[0:1], 0x60
	s_load_b128 s[16:19], s[0:1], 0x50
	v_bfe_u32 v12, v0, 10, 10
	s_add_co_i32 s26, s26, 1
	s_and_b32 s29, ttmp7, 0xffff
	s_add_co_i32 s28, s28, 1
	s_and_b32 s27, ttmp6, 15
	s_mul_i32 s26, ttmp9, s26
	s_mul_i32 s28, s29, s28
	s_bfe_u32 s30, ttmp6, 0x40004
	s_ashr_i32 s4, s4, 5
	s_add_co_i32 s27, s27, s26
	s_add_co_i32 s30, s30, s28
	v_and_b32_e32 v13, 0x3ff, v0
	v_lshlrev_b32_e32 v1, 2, v12
	s_cmp_eq_u32 s3, 0
	s_cselect_b32 s3, ttmp9, s27
	s_delay_alu instid0(VALU_DEP_2) | instskip(NEXT) | instid1(VALU_DEP_2)
	v_lshlrev_b32_e32 v14, 7, v13
	v_or_b32_e32 v15, 0x1000, v1
	v_lshl_add_u32 v0, s3, 5, v13
	s_cselect_b32 s35, s29, s30
	s_add_nc_u64 s[26:27], s[0:1], 0x78
	s_cmp_le_i32 s35, s4
	v_dual_add_nc_u32 v16, v14, v1 :: v_dual_add_nc_u32 v17, v15, v14
	v_cmp_gt_i32_e64 s3, s5, v0
	v_ashrrev_i32_e32 v1, 31, v0
	v_add_nc_u32_e32 v18, 0x400, v15
	v_add_nc_u32_e32 v19, 0x800, v15
	;; [unrolled: 1-line block ×3, first 2 shown]
	s_cselect_b32 s36, -1, 0
	s_cmp_gt_i32 s5, 0
	s_wait_xcnt 0x0
	s_cselect_b32 s1, -1, 0
	s_wait_kmcnt 0x0
	s_lshl_b64 s[10:11], s[10:11], 2
	s_lshl_b64 s[14:15], s[14:15], 2
	;; [unrolled: 1-line block ×3, first 2 shown]
	s_branch .LBB36_4
.LBB36_3:                               ;   in Loop: Header=BB36_4 Depth=1
	s_add_co_i32 s34, s34, 0x10000
	s_delay_alu instid0(SALU_CYCLE_1)
	s_cmp_lt_u32 s34, s33
	s_cbranch_scc0 .LBB36_16
.LBB36_4:                               ; =>This Loop Header: Depth=1
                                        ;     Child Loop BB36_7 Depth 2
                                        ;       Child Loop BB36_10 Depth 3
	s_and_not1_b32 vcc_lo, exec_lo, s36
	s_cbranch_vccnz .LBB36_3
; %bb.5:                                ;   in Loop: Header=BB36_4 Depth=1
	s_load_b64 s[28:29], s[16:17], s34 offset:0x0 scale_offset
	s_load_b64 s[30:31], s[8:9], s34 offset:0x0 scale_offset
	;; [unrolled: 1-line block ×3, first 2 shown]
	s_load_b32 s37, s[26:27], 0x4
	s_wait_kmcnt 0x0
	s_add_nc_u64 s[28:29], s[28:29], s[18:19]
	s_delay_alu instid0(SALU_CYCLE_1)
	v_lshl_add_u64 v[2:3], v[0:1], 2, s[28:29]
	s_add_nc_u64 s[28:29], s[30:31], s[10:11]
	s_add_nc_u64 s[30:31], s[38:39], s[14:15]
	s_mov_b32 s38, s35
	s_branch .LBB36_7
.LBB36_6:                               ;   in Loop: Header=BB36_7 Depth=2
	s_add_co_i32 s38, s38, s37
	s_delay_alu instid0(SALU_CYCLE_1)
	s_cmp_gt_i32 s38, s4
	s_cbranch_scc1 .LBB36_3
.LBB36_7:                               ;   Parent Loop BB36_4 Depth=1
                                        ; =>  This Loop Header: Depth=2
                                        ;       Child Loop BB36_10 Depth 3
	s_and_not1_b32 vcc_lo, exec_lo, s1
	s_cbranch_vccnz .LBB36_6
; %bb.8:                                ;   in Loop: Header=BB36_7 Depth=2
	v_lshl_add_u32 v4, s38, 5, v12
	s_mov_b32 s40, 0
	s_delay_alu instid0(VALU_DEP_1) | instskip(SKIP_1) | instid1(VALU_DEP_2)
	v_ashrrev_i32_e32 v5, 31, v4
	v_cmp_gt_i32_e32 vcc_lo, s6, v4
	v_mul_u64_e32 v[6:7], s[22:23], v[4:5]
	v_mul_u64_e32 v[8:9], s[24:25], v[4:5]
	s_and_b32 s39, s3, vcc_lo
	s_delay_alu instid0(VALU_DEP_2) | instskip(NEXT) | instid1(VALU_DEP_2)
	v_lshl_add_u64 v[4:5], v[6:7], 2, s[30:31]
	v_lshl_add_u64 v[6:7], v[8:9], 2, v[2:3]
	s_branch .LBB36_10
.LBB36_9:                               ;   in Loop: Header=BB36_10 Depth=3
	s_wait_xcnt 0x0
	s_or_b32 exec_lo, exec_lo, s0
	s_add_co_i32 s40, s40, 32
	s_wait_storecnt_dscnt 0x0
	s_cmp_ge_i32 s40, s5
	s_barrier_signal -1
	s_barrier_wait -1
	s_cbranch_scc1 .LBB36_6
.LBB36_10:                              ;   Parent Loop BB36_4 Depth=1
                                        ;     Parent Loop BB36_7 Depth=2
                                        ; =>    This Inner Loop Header: Depth=3
	v_dual_add_nc_u32 v9, s40, v12 :: v_dual_mov_b32 v21, 0
	s_delay_alu instid0(VALU_DEP_1) | instskip(NEXT) | instid1(VALU_DEP_1)
	v_dual_cndmask_b32 v8, v9, v0, s2 :: v_dual_cndmask_b32 v10, v0, v9, s2
	v_cmp_gt_i32_e64 s0, v8, v10
	s_delay_alu instid0(VALU_DEP_1) | instskip(NEXT) | instid1(VALU_DEP_1)
	v_dual_cndmask_b32 v8, v0, v9, s0 :: v_dual_cndmask_b32 v10, v9, v0, s0
	v_max_i32_e32 v9, v8, v10
	s_delay_alu instid0(VALU_DEP_1)
	v_cmp_gt_i32_e64 s0, s5, v9
	v_mov_b32_e32 v9, 0
	s_and_saveexec_b32 s41, s0
	s_cbranch_execz .LBB36_12
; %bb.11:                               ;   in Loop: Header=BB36_10 Depth=3
	v_dual_ashrrev_i32 v11, 31, v10 :: v_dual_ashrrev_i32 v9, 31, v8
	s_delay_alu instid0(VALU_DEP_1) | instskip(NEXT) | instid1(VALU_DEP_1)
	v_mul_u64_e32 v[10:11], s[20:21], v[10:11]
	v_lshl_add_u64 v[10:11], v[10:11], 2, s[28:29]
	s_delay_alu instid0(VALU_DEP_1)
	v_lshl_add_u64 v[8:9], v[8:9], 2, v[10:11]
	flat_load_b32 v9, v[8:9]
.LBB36_12:                              ;   in Loop: Header=BB36_10 Depth=3
	s_wait_xcnt 0x0
	s_or_b32 exec_lo, exec_lo, s41
	v_add_nc_u32_e32 v8, s40, v13
	s_wait_loadcnt_dscnt 0x0
	ds_store_b32 v16, v9
	v_cmp_gt_i32_e64 s0, s5, v8
	s_and_b32 s41, s0, vcc_lo
	s_delay_alu instid0(SALU_CYCLE_1)
	s_and_saveexec_b32 s0, s41
	s_cbranch_execz .LBB36_14
; %bb.13:                               ;   in Loop: Header=BB36_10 Depth=3
	v_ashrrev_i32_e32 v9, 31, v8
	s_delay_alu instid0(VALU_DEP_1)
	v_lshl_add_u64 v[8:9], v[8:9], 2, v[4:5]
	flat_load_b32 v21, v[8:9]
.LBB36_14:                              ;   in Loop: Header=BB36_10 Depth=3
	s_wait_xcnt 0x0
	s_or_b32 exec_lo, exec_lo, s0
	s_wait_loadcnt_dscnt 0x0
	ds_store_b32 v17, v21
	s_wait_dscnt 0x0
	s_barrier_signal -1
	s_barrier_wait -1
	s_and_saveexec_b32 s0, s39
	s_cbranch_execz .LBB36_9
; %bb.15:                               ;   in Loop: Header=BB36_10 Depth=3
	flat_load_b32 v21, v[6:7]
	ds_load_b128 v[8:11], v14
	ds_load_2addr_b32 v[26:27], v15 offset1:32
	ds_load_2addr_b32 v[28:29], v15 offset0:64 offset1:96
	ds_load_b128 v[22:25], v14 offset:16
	ds_load_2addr_b32 v[30:31], v15 offset0:128 offset1:160
	s_wait_dscnt 0x3
	v_fma_f32 v32, v8, v26, 0
	s_delay_alu instid0(VALU_DEP_1) | instskip(SKIP_3) | instid1(VALU_DEP_1)
	v_fmac_f32_e32 v32, v9, v27
	ds_load_2addr_b32 v[26:27], v15 offset0:192 offset1:224
	s_wait_dscnt 0x3
	v_fmac_f32_e32 v32, v10, v28
	v_fmac_f32_e32 v32, v11, v29
	ds_load_b128 v[8:11], v14 offset:32
	ds_load_2addr_b32 v[28:29], v18 offset1:32
	s_wait_dscnt 0x3
	v_fmac_f32_e32 v32, v22, v30
	s_delay_alu instid0(VALU_DEP_1) | instskip(SKIP_3) | instid1(VALU_DEP_1)
	v_fmac_f32_e32 v32, v23, v31
	ds_load_2addr_b32 v[30:31], v18 offset0:64 offset1:96
	s_wait_dscnt 0x3
	v_fmac_f32_e32 v32, v24, v26
	v_fmac_f32_e32 v32, v25, v27
	ds_load_b128 v[22:25], v14 offset:48
	ds_load_2addr_b32 v[26:27], v18 offset0:128 offset1:160
	s_wait_dscnt 0x3
	v_fmac_f32_e32 v32, v8, v28
	s_delay_alu instid0(VALU_DEP_1) | instskip(SKIP_3) | instid1(VALU_DEP_1)
	v_fmac_f32_e32 v32, v9, v29
	ds_load_2addr_b32 v[28:29], v18 offset0:192 offset1:224
	s_wait_dscnt 0x3
	v_fmac_f32_e32 v32, v10, v30
	v_fmac_f32_e32 v32, v11, v31
	ds_load_b128 v[8:11], v14 offset:64
	ds_load_2addr_b32 v[30:31], v19 offset1:32
	s_wait_dscnt 0x3
	v_fmac_f32_e32 v32, v22, v26
	s_delay_alu instid0(VALU_DEP_1) | instskip(SKIP_3) | instid1(VALU_DEP_1)
	v_fmac_f32_e32 v32, v23, v27
	ds_load_2addr_b32 v[26:27], v19 offset0:64 offset1:96
	s_wait_dscnt 0x3
	v_fmac_f32_e32 v32, v24, v28
	v_fmac_f32_e32 v32, v25, v29
	ds_load_b128 v[22:25], v14 offset:80
	ds_load_2addr_b32 v[28:29], v19 offset0:128 offset1:160
	s_wait_dscnt 0x3
	v_fmac_f32_e32 v32, v8, v30
	s_delay_alu instid0(VALU_DEP_1) | instskip(SKIP_3) | instid1(VALU_DEP_1)
	v_fmac_f32_e32 v32, v9, v31
	ds_load_2addr_b32 v[30:31], v19 offset0:192 offset1:224
	s_wait_dscnt 0x3
	v_fmac_f32_e32 v32, v10, v26
	v_fmac_f32_e32 v32, v11, v27
	ds_load_2addr_b32 v[26:27], v20 offset1:32
	ds_load_b128 v[8:11], v14 offset:96
	s_wait_dscnt 0x3
	v_fmac_f32_e32 v32, v22, v28
	s_delay_alu instid0(VALU_DEP_1) | instskip(SKIP_4) | instid1(VALU_DEP_1)
	v_fmac_f32_e32 v32, v23, v29
	s_wait_dscnt 0x2
	v_pk_mul_f32 v[22:23], v[24:25], v[30:31]
	ds_load_2addr_b32 v[28:29], v20 offset0:64 offset1:96
	v_add_f32_e32 v22, v32, v22
	v_add_f32_e32 v30, v22, v23
	ds_load_b128 v[22:25], v14 offset:112
	s_wait_dscnt 0x2
	v_pk_mul_f32 v[8:9], v[8:9], v[26:27]
	ds_load_2addr_b32 v[26:27], v20 offset0:128 offset1:160
	v_add_f32_e32 v8, v30, v8
	s_delay_alu instid0(VALU_DEP_1) | instskip(SKIP_4) | instid1(VALU_DEP_1)
	v_add_f32_e32 v30, v8, v9
	s_wait_dscnt 0x2
	v_pk_mul_f32 v[8:9], v[10:11], v[28:29]
	ds_load_2addr_b32 v[10:11], v20 offset0:192 offset1:224
	v_add_f32_e32 v8, v30, v8
	v_add_f32_e32 v28, v8, v9
	s_wait_dscnt 0x1
	v_pk_mul_f32 v[8:9], v[22:23], v[26:27]
	s_delay_alu instid0(VALU_DEP_1) | instskip(NEXT) | instid1(VALU_DEP_1)
	v_add_f32_e32 v8, v28, v8
	v_add_f32_e32 v22, v8, v9
	s_wait_dscnt 0x0
	v_pk_mul_f32 v[8:9], v[24:25], v[10:11]
	s_delay_alu instid0(VALU_DEP_1) | instskip(NEXT) | instid1(VALU_DEP_1)
	v_add_f32_e32 v8, v22, v8
	v_add_f32_e32 v8, v8, v9
	s_wait_loadcnt 0x0
	s_delay_alu instid0(VALU_DEP_1)
	v_fmac_f32_e32 v21, s7, v8
	flat_store_b32 v[6:7], v21
	s_branch .LBB36_9
.LBB36_16:
	s_endpgm
	.section	.rodata,"a",@progbits
	.p2align	6, 0x0
	.amdhsa_kernel _ZL24rocblas_symm_hemm_kernelILb0ELb0ELi32EfPKPKfPKPfEvbiiT2_T3_lllS8_lllT4_llli
		.amdhsa_group_segment_fixed_size 8192
		.amdhsa_private_segment_fixed_size 0
		.amdhsa_kernarg_size 376
		.amdhsa_user_sgpr_count 2
		.amdhsa_user_sgpr_dispatch_ptr 0
		.amdhsa_user_sgpr_queue_ptr 0
		.amdhsa_user_sgpr_kernarg_segment_ptr 1
		.amdhsa_user_sgpr_dispatch_id 0
		.amdhsa_user_sgpr_kernarg_preload_length 0
		.amdhsa_user_sgpr_kernarg_preload_offset 0
		.amdhsa_user_sgpr_private_segment_size 0
		.amdhsa_wavefront_size32 1
		.amdhsa_uses_dynamic_stack 0
		.amdhsa_enable_private_segment 0
		.amdhsa_system_sgpr_workgroup_id_x 1
		.amdhsa_system_sgpr_workgroup_id_y 1
		.amdhsa_system_sgpr_workgroup_id_z 1
		.amdhsa_system_sgpr_workgroup_info 0
		.amdhsa_system_vgpr_workitem_id 1
		.amdhsa_next_free_vgpr 33
		.amdhsa_next_free_sgpr 42
		.amdhsa_named_barrier_count 0
		.amdhsa_reserve_vcc 1
		.amdhsa_float_round_mode_32 0
		.amdhsa_float_round_mode_16_64 0
		.amdhsa_float_denorm_mode_32 3
		.amdhsa_float_denorm_mode_16_64 3
		.amdhsa_fp16_overflow 0
		.amdhsa_memory_ordered 1
		.amdhsa_forward_progress 1
		.amdhsa_inst_pref_size 11
		.amdhsa_round_robin_scheduling 0
		.amdhsa_exception_fp_ieee_invalid_op 0
		.amdhsa_exception_fp_denorm_src 0
		.amdhsa_exception_fp_ieee_div_zero 0
		.amdhsa_exception_fp_ieee_overflow 0
		.amdhsa_exception_fp_ieee_underflow 0
		.amdhsa_exception_fp_ieee_inexact 0
		.amdhsa_exception_int_div_zero 0
	.end_amdhsa_kernel
	.section	.text._ZL24rocblas_symm_hemm_kernelILb0ELb0ELi32EfPKPKfPKPfEvbiiT2_T3_lllS8_lllT4_llli,"axG",@progbits,_ZL24rocblas_symm_hemm_kernelILb0ELb0ELi32EfPKPKfPKPfEvbiiT2_T3_lllS8_lllT4_llli,comdat
.Lfunc_end36:
	.size	_ZL24rocblas_symm_hemm_kernelILb0ELb0ELi32EfPKPKfPKPfEvbiiT2_T3_lllS8_lllT4_llli, .Lfunc_end36-_ZL24rocblas_symm_hemm_kernelILb0ELb0ELi32EfPKPKfPKPfEvbiiT2_T3_lllS8_lllT4_llli
                                        ; -- End function
	.set _ZL24rocblas_symm_hemm_kernelILb0ELb0ELi32EfPKPKfPKPfEvbiiT2_T3_lllS8_lllT4_llli.num_vgpr, 33
	.set _ZL24rocblas_symm_hemm_kernelILb0ELb0ELi32EfPKPKfPKPfEvbiiT2_T3_lllS8_lllT4_llli.num_agpr, 0
	.set _ZL24rocblas_symm_hemm_kernelILb0ELb0ELi32EfPKPKfPKPfEvbiiT2_T3_lllS8_lllT4_llli.numbered_sgpr, 42
	.set _ZL24rocblas_symm_hemm_kernelILb0ELb0ELi32EfPKPKfPKPfEvbiiT2_T3_lllS8_lllT4_llli.num_named_barrier, 0
	.set _ZL24rocblas_symm_hemm_kernelILb0ELb0ELi32EfPKPKfPKPfEvbiiT2_T3_lllS8_lllT4_llli.private_seg_size, 0
	.set _ZL24rocblas_symm_hemm_kernelILb0ELb0ELi32EfPKPKfPKPfEvbiiT2_T3_lllS8_lllT4_llli.uses_vcc, 1
	.set _ZL24rocblas_symm_hemm_kernelILb0ELb0ELi32EfPKPKfPKPfEvbiiT2_T3_lllS8_lllT4_llli.uses_flat_scratch, 0
	.set _ZL24rocblas_symm_hemm_kernelILb0ELb0ELi32EfPKPKfPKPfEvbiiT2_T3_lllS8_lllT4_llli.has_dyn_sized_stack, 0
	.set _ZL24rocblas_symm_hemm_kernelILb0ELb0ELi32EfPKPKfPKPfEvbiiT2_T3_lllS8_lllT4_llli.has_recursion, 0
	.set _ZL24rocblas_symm_hemm_kernelILb0ELb0ELi32EfPKPKfPKPfEvbiiT2_T3_lllS8_lllT4_llli.has_indirect_call, 0
	.section	.AMDGPU.csdata,"",@progbits
; Kernel info:
; codeLenInByte = 1352
; TotalNumSgprs: 44
; NumVgprs: 33
; ScratchSize: 0
; MemoryBound: 0
; FloatMode: 240
; IeeeMode: 1
; LDSByteSize: 8192 bytes/workgroup (compile time only)
; SGPRBlocks: 0
; VGPRBlocks: 2
; NumSGPRsForWavesPerEU: 44
; NumVGPRsForWavesPerEU: 33
; NamedBarCnt: 0
; Occupancy: 16
; WaveLimiterHint : 1
; COMPUTE_PGM_RSRC2:SCRATCH_EN: 0
; COMPUTE_PGM_RSRC2:USER_SGPR: 2
; COMPUTE_PGM_RSRC2:TRAP_HANDLER: 0
; COMPUTE_PGM_RSRC2:TGID_X_EN: 1
; COMPUTE_PGM_RSRC2:TGID_Y_EN: 1
; COMPUTE_PGM_RSRC2:TGID_Z_EN: 1
; COMPUTE_PGM_RSRC2:TIDIG_COMP_CNT: 1
	.section	.text._ZL24rocblas_symm_hemm_kernelILb0ELb1ELi32EfPKPKfPKPfEvbiiT2_T3_lllS8_lllT4_llli,"axG",@progbits,_ZL24rocblas_symm_hemm_kernelILb0ELb1ELi32EfPKPKfPKPfEvbiiT2_T3_lllS8_lllT4_llli,comdat
	.globl	_ZL24rocblas_symm_hemm_kernelILb0ELb1ELi32EfPKPKfPKPfEvbiiT2_T3_lllS8_lllT4_llli ; -- Begin function _ZL24rocblas_symm_hemm_kernelILb0ELb1ELi32EfPKPKfPKPfEvbiiT2_T3_lllS8_lllT4_llli
	.p2align	8
	.type	_ZL24rocblas_symm_hemm_kernelILb0ELb1ELi32EfPKPKfPKPfEvbiiT2_T3_lllS8_lllT4_llli,@function
_ZL24rocblas_symm_hemm_kernelILb0ELb1ELi32EfPKPKfPKPfEvbiiT2_T3_lllS8_lllT4_llli: ; @_ZL24rocblas_symm_hemm_kernelILb0ELb1ELi32EfPKPKfPKPfEvbiiT2_T3_lllS8_lllT4_llli
; %bb.0:
	s_load_b128 s[4:7], s[0:1], 0x0
	s_wait_kmcnt 0x0
	s_cmp_eq_f32 s7, 0
	s_cbranch_scc1 .LBB37_16
; %bb.1:
	s_load_b32 s26, s[0:1], 0x70
	s_bfe_u32 s2, ttmp6, 0x40014
	s_lshr_b32 s8, ttmp7, 16
	s_add_co_i32 s2, s2, 1
	s_bfe_u32 s9, ttmp6, 0x40008
	s_mul_i32 s2, s8, s2
	s_getreg_b32 s3, hwreg(HW_REG_IB_STS2, 6, 4)
	s_add_co_i32 s9, s9, s2
	s_cmp_eq_u32 s3, 0
	s_cselect_b32 s27, s8, s9
	s_wait_kmcnt 0x0
	s_cmp_ge_u32 s27, s26
	s_cbranch_scc1 .LBB37_16
; %bb.2:
	s_bitcmp1_b32 s4, 0
	s_clause 0x1
	s_load_b128 s[8:11], s[0:1], 0x10
	s_load_b64 s[20:21], s[0:1], 0x20
	s_cselect_b32 s2, -1, 0
	s_add_co_i32 s4, s6, -1
	s_bfe_u32 s30, ttmp6, 0x40010
	s_ashr_i32 s12, s4, 31
	s_and_b32 s31, ttmp7, 0xffff
	s_lshr_b32 s16, s12, 27
	s_add_co_i32 s30, s30, 1
	s_add_co_i32 s4, s4, s16
	s_and_b32 s29, ttmp6, 15
	s_ashr_i32 s28, s4, 5
	s_bfe_u32 s4, ttmp6, 0x4000c
	s_mul_i32 s30, s31, s30
	s_add_co_i32 s4, s4, 1
	s_bfe_u32 s33, ttmp6, 0x40004
	s_mul_i32 s4, ttmp9, s4
	s_clause 0x3
	s_load_b128 s[12:15], s[0:1], 0x30
	s_load_b64 s[22:23], s[0:1], 0x40
	s_load_b64 s[24:25], s[0:1], 0x60
	s_load_b128 s[16:19], s[0:1], 0x50
	s_add_co_i32 s4, s29, s4
	s_add_co_i32 s33, s33, s30
	v_and_b32_e32 v15, 0x3ff, v0
	s_cmp_eq_u32 s3, 0
	v_bfe_u32 v14, v0, 10, 10
	s_cselect_b32 s3, ttmp9, s4
	s_cselect_b32 s29, s31, s33
	v_lshl_add_u32 v0, s3, 5, v15
	s_delay_alu instid0(VALU_DEP_2)
	v_dual_lshlrev_b32 v16, 7, v15 :: v_dual_lshlrev_b32 v2, 2, v14
	s_cmp_le_i32 s29, s28
	s_wait_xcnt 0x0
	s_add_nc_u64 s[0:1], s[0:1], 0x78
	v_ashrrev_i32_e32 v1, 31, v0
	v_cmp_gt_i32_e64 s3, s5, v0
	v_or_b32_e32 v17, 0x1000, v2
	v_add_nc_u32_e32 v18, v16, v2
	s_cselect_b32 s30, -1, 0
	v_lshlrev_b64_e32 v[0:1], 2, v[0:1]
	s_cmp_gt_i32 s6, 0
	v_add_nc_u32_e32 v19, v17, v16
	v_add_nc_u32_e32 v20, 0x400, v17
	;; [unrolled: 1-line block ×4, first 2 shown]
	s_cselect_b32 s31, -1, 0
	s_wait_kmcnt 0x0
	s_lshl_b64 s[4:5], s[10:11], 2
	s_lshl_b64 s[10:11], s[18:19], 2
	;; [unrolled: 1-line block ×3, first 2 shown]
	s_branch .LBB37_4
.LBB37_3:                               ;   in Loop: Header=BB37_4 Depth=1
	s_add_co_i32 s27, s27, 0x10000
	s_delay_alu instid0(SALU_CYCLE_1)
	s_cmp_lt_u32 s27, s26
	s_cbranch_scc0 .LBB37_16
.LBB37_4:                               ; =>This Loop Header: Depth=1
                                        ;     Child Loop BB37_7 Depth 2
                                        ;       Child Loop BB37_10 Depth 3
	s_and_not1_b32 vcc_lo, exec_lo, s30
	s_cbranch_vccnz .LBB37_3
; %bb.5:                                ;   in Loop: Header=BB37_4 Depth=1
	s_load_b64 s[18:19], s[12:13], s27 offset:0x0 scale_offset
	s_load_b64 s[34:35], s[16:17], s27 offset:0x0 scale_offset
	;; [unrolled: 1-line block ×3, first 2 shown]
	s_load_b32 s33, s[0:1], 0x4
	s_wait_kmcnt 0x0
	s_add_nc_u64 s[18:19], s[18:19], s[14:15]
	s_add_nc_u64 s[34:35], s[34:35], s[10:11]
	v_add_nc_u64_e32 v[2:3], s[18:19], v[0:1]
	v_add_nc_u64_e32 v[4:5], s[34:35], v[0:1]
	s_add_nc_u64 s[18:19], s[36:37], s[4:5]
	s_mov_b32 s34, s29
	s_branch .LBB37_7
.LBB37_6:                               ;   in Loop: Header=BB37_7 Depth=2
	s_add_co_i32 s34, s34, s33
	s_delay_alu instid0(SALU_CYCLE_1)
	s_cmp_gt_i32 s34, s28
	s_cbranch_scc1 .LBB37_3
.LBB37_7:                               ;   Parent Loop BB37_4 Depth=1
                                        ; =>  This Loop Header: Depth=2
                                        ;       Child Loop BB37_10 Depth 3
	s_and_not1_b32 vcc_lo, exec_lo, s31
	s_cbranch_vccnz .LBB37_6
; %bb.8:                                ;   in Loop: Header=BB37_7 Depth=2
	v_lshl_add_u32 v6, s34, 5, v14
	s_mov_b32 s36, 0
	s_delay_alu instid0(VALU_DEP_1) | instskip(SKIP_1) | instid1(VALU_DEP_2)
	v_ashrrev_i32_e32 v7, 31, v6
	v_cmp_gt_i32_e32 vcc_lo, s6, v6
	v_mul_u64_e32 v[8:9], s[24:25], v[6:7]
	s_and_b32 s35, s3, vcc_lo
	s_delay_alu instid0(VALU_DEP_1)
	v_lshl_add_u64 v[8:9], v[8:9], 2, v[4:5]
	s_branch .LBB37_10
.LBB37_9:                               ;   in Loop: Header=BB37_10 Depth=3
	s_wait_xcnt 0x0
	s_or_b32 exec_lo, exec_lo, s37
	s_add_co_i32 s36, s36, 32
	s_wait_storecnt_dscnt 0x0
	s_cmp_ge_i32 s36, s6
	s_barrier_signal -1
	s_barrier_wait -1
	s_cbranch_scc1 .LBB37_6
.LBB37_10:                              ;   Parent Loop BB37_4 Depth=1
                                        ;     Parent Loop BB37_7 Depth=2
                                        ; =>    This Inner Loop Header: Depth=3
	v_dual_mov_b32 v7, 0 :: v_dual_add_nc_u32 v10, s36, v14
	v_mov_b32_e32 v11, 0
	s_delay_alu instid0(VALU_DEP_2) | instskip(SKIP_1) | instid1(SALU_CYCLE_1)
	v_cmp_gt_i32_e32 vcc_lo, s6, v10
	s_and_b32 s38, s3, vcc_lo
	s_and_saveexec_b32 s37, s38
	s_cbranch_execz .LBB37_12
; %bb.11:                               ;   in Loop: Header=BB37_10 Depth=3
	v_ashrrev_i32_e32 v11, 31, v10
	s_delay_alu instid0(VALU_DEP_1) | instskip(NEXT) | instid1(VALU_DEP_1)
	v_mul_u64_e32 v[10:11], s[22:23], v[10:11]
	v_lshl_add_u64 v[10:11], v[10:11], 2, v[2:3]
	flat_load_b32 v11, v[10:11]
.LBB37_12:                              ;   in Loop: Header=BB37_10 Depth=3
	s_wait_xcnt 0x0
	s_or_b32 exec_lo, exec_lo, s37
	v_add_nc_u32_e32 v12, s36, v15
	s_mov_b32 s37, exec_lo
	s_wait_loadcnt_dscnt 0x0
	ds_store_b32 v18, v11
	v_dual_cndmask_b32 v10, v6, v12, s2 :: v_dual_cndmask_b32 v13, v12, v6, s2
	s_delay_alu instid0(VALU_DEP_1) | instskip(SKIP_1) | instid1(VALU_DEP_1)
	v_cmp_gt_i32_e32 vcc_lo, v10, v13
	v_dual_cndmask_b32 v10, v12, v6, vcc_lo :: v_dual_cndmask_b32 v12, v6, v12, vcc_lo
	v_max_i32_e32 v13, v10, v12
	s_delay_alu instid0(VALU_DEP_1)
	v_cmpx_gt_i32_e64 s6, v13
	s_cbranch_execz .LBB37_14
; %bb.13:                               ;   in Loop: Header=BB37_10 Depth=3
	v_dual_ashrrev_i32 v13, 31, v12 :: v_dual_ashrrev_i32 v11, 31, v10
	s_delay_alu instid0(VALU_DEP_1) | instskip(NEXT) | instid1(VALU_DEP_1)
	v_mul_u64_e32 v[12:13], s[20:21], v[12:13]
	v_lshl_add_u64 v[12:13], v[12:13], 2, s[18:19]
	s_delay_alu instid0(VALU_DEP_1)
	v_lshl_add_u64 v[10:11], v[10:11], 2, v[12:13]
	flat_load_b32 v7, v[10:11]
.LBB37_14:                              ;   in Loop: Header=BB37_10 Depth=3
	s_wait_xcnt 0x0
	s_or_b32 exec_lo, exec_lo, s37
	s_wait_loadcnt_dscnt 0x0
	ds_store_b32 v19, v7
	s_wait_dscnt 0x0
	s_barrier_signal -1
	s_barrier_wait -1
	s_and_saveexec_b32 s37, s35
	s_cbranch_execz .LBB37_9
; %bb.15:                               ;   in Loop: Header=BB37_10 Depth=3
	flat_load_b32 v7, v[8:9]
	ds_load_b128 v[10:13], v16
	ds_load_2addr_b32 v[28:29], v17 offset1:32
	ds_load_2addr_b32 v[30:31], v17 offset0:64 offset1:96
	ds_load_b128 v[24:27], v16 offset:16
	ds_load_2addr_b32 v[32:33], v17 offset0:128 offset1:160
	s_wait_dscnt 0x3
	v_fma_f32 v23, v10, v28, 0
	s_delay_alu instid0(VALU_DEP_1) | instskip(SKIP_3) | instid1(VALU_DEP_1)
	v_fmac_f32_e32 v23, v11, v29
	ds_load_2addr_b32 v[28:29], v17 offset0:192 offset1:224
	s_wait_dscnt 0x3
	v_fmac_f32_e32 v23, v12, v30
	v_fmac_f32_e32 v23, v13, v31
	ds_load_b128 v[10:13], v16 offset:32
	ds_load_2addr_b32 v[30:31], v20 offset1:32
	s_wait_dscnt 0x3
	v_fmac_f32_e32 v23, v24, v32
	s_delay_alu instid0(VALU_DEP_1) | instskip(SKIP_3) | instid1(VALU_DEP_1)
	v_fmac_f32_e32 v23, v25, v33
	ds_load_2addr_b32 v[32:33], v20 offset0:64 offset1:96
	s_wait_dscnt 0x3
	v_fmac_f32_e32 v23, v26, v28
	v_fmac_f32_e32 v23, v27, v29
	ds_load_b128 v[24:27], v16 offset:48
	ds_load_2addr_b32 v[28:29], v20 offset0:128 offset1:160
	s_wait_dscnt 0x3
	v_fmac_f32_e32 v23, v10, v30
	s_delay_alu instid0(VALU_DEP_1) | instskip(SKIP_3) | instid1(VALU_DEP_1)
	v_fmac_f32_e32 v23, v11, v31
	ds_load_2addr_b32 v[30:31], v20 offset0:192 offset1:224
	s_wait_dscnt 0x3
	v_fmac_f32_e32 v23, v12, v32
	v_fmac_f32_e32 v23, v13, v33
	ds_load_b128 v[10:13], v16 offset:64
	ds_load_2addr_b32 v[32:33], v21 offset1:32
	s_wait_dscnt 0x3
	v_fmac_f32_e32 v23, v24, v28
	s_delay_alu instid0(VALU_DEP_1) | instskip(SKIP_3) | instid1(VALU_DEP_1)
	v_fmac_f32_e32 v23, v25, v29
	ds_load_2addr_b32 v[28:29], v21 offset0:64 offset1:96
	s_wait_dscnt 0x3
	v_fmac_f32_e32 v23, v26, v30
	v_fmac_f32_e32 v23, v27, v31
	ds_load_b128 v[24:27], v16 offset:80
	ds_load_2addr_b32 v[30:31], v21 offset0:128 offset1:160
	s_wait_dscnt 0x3
	v_fmac_f32_e32 v23, v10, v32
	s_delay_alu instid0(VALU_DEP_1) | instskip(SKIP_3) | instid1(VALU_DEP_1)
	v_fmac_f32_e32 v23, v11, v33
	ds_load_2addr_b32 v[32:33], v21 offset0:192 offset1:224
	s_wait_dscnt 0x3
	v_fmac_f32_e32 v23, v12, v28
	v_fmac_f32_e32 v23, v13, v29
	ds_load_2addr_b32 v[28:29], v22 offset1:32
	ds_load_b128 v[10:13], v16 offset:96
	s_wait_dscnt 0x3
	v_fmac_f32_e32 v23, v24, v30
	s_delay_alu instid0(VALU_DEP_1) | instskip(SKIP_4) | instid1(VALU_DEP_1)
	v_fmac_f32_e32 v23, v25, v31
	s_wait_dscnt 0x2
	v_pk_mul_f32 v[24:25], v[26:27], v[32:33]
	ds_load_2addr_b32 v[30:31], v22 offset0:64 offset1:96
	v_add_f32_e32 v23, v23, v24
	v_add_f32_e32 v23, v23, v25
	ds_load_b128 v[24:27], v16 offset:112
	s_wait_dscnt 0x2
	v_pk_mul_f32 v[10:11], v[10:11], v[28:29]
	ds_load_2addr_b32 v[28:29], v22 offset0:128 offset1:160
	v_add_f32_e32 v10, v23, v10
	s_delay_alu instid0(VALU_DEP_1) | instskip(SKIP_4) | instid1(VALU_DEP_1)
	v_add_f32_e32 v23, v10, v11
	s_wait_dscnt 0x2
	v_pk_mul_f32 v[10:11], v[12:13], v[30:31]
	ds_load_2addr_b32 v[12:13], v22 offset0:192 offset1:224
	v_add_f32_e32 v10, v23, v10
	v_add_f32_e32 v23, v10, v11
	s_wait_dscnt 0x1
	v_pk_mul_f32 v[10:11], v[24:25], v[28:29]
	s_delay_alu instid0(VALU_DEP_1) | instskip(NEXT) | instid1(VALU_DEP_1)
	v_add_f32_e32 v10, v23, v10
	v_add_f32_e32 v23, v10, v11
	s_wait_dscnt 0x0
	v_pk_mul_f32 v[10:11], v[26:27], v[12:13]
	s_delay_alu instid0(VALU_DEP_1) | instskip(NEXT) | instid1(VALU_DEP_1)
	v_add_f32_e32 v10, v23, v10
	v_add_f32_e32 v10, v10, v11
	s_wait_loadcnt 0x0
	s_delay_alu instid0(VALU_DEP_1)
	v_fmac_f32_e32 v7, s7, v10
	flat_store_b32 v[8:9], v7
	s_branch .LBB37_9
.LBB37_16:
	s_endpgm
	.section	.rodata,"a",@progbits
	.p2align	6, 0x0
	.amdhsa_kernel _ZL24rocblas_symm_hemm_kernelILb0ELb1ELi32EfPKPKfPKPfEvbiiT2_T3_lllS8_lllT4_llli
		.amdhsa_group_segment_fixed_size 8192
		.amdhsa_private_segment_fixed_size 0
		.amdhsa_kernarg_size 376
		.amdhsa_user_sgpr_count 2
		.amdhsa_user_sgpr_dispatch_ptr 0
		.amdhsa_user_sgpr_queue_ptr 0
		.amdhsa_user_sgpr_kernarg_segment_ptr 1
		.amdhsa_user_sgpr_dispatch_id 0
		.amdhsa_user_sgpr_kernarg_preload_length 0
		.amdhsa_user_sgpr_kernarg_preload_offset 0
		.amdhsa_user_sgpr_private_segment_size 0
		.amdhsa_wavefront_size32 1
		.amdhsa_uses_dynamic_stack 0
		.amdhsa_enable_private_segment 0
		.amdhsa_system_sgpr_workgroup_id_x 1
		.amdhsa_system_sgpr_workgroup_id_y 1
		.amdhsa_system_sgpr_workgroup_id_z 1
		.amdhsa_system_sgpr_workgroup_info 0
		.amdhsa_system_vgpr_workitem_id 1
		.amdhsa_next_free_vgpr 34
		.amdhsa_next_free_sgpr 39
		.amdhsa_named_barrier_count 0
		.amdhsa_reserve_vcc 1
		.amdhsa_float_round_mode_32 0
		.amdhsa_float_round_mode_16_64 0
		.amdhsa_float_denorm_mode_32 3
		.amdhsa_float_denorm_mode_16_64 3
		.amdhsa_fp16_overflow 0
		.amdhsa_memory_ordered 1
		.amdhsa_forward_progress 1
		.amdhsa_inst_pref_size 11
		.amdhsa_round_robin_scheduling 0
		.amdhsa_exception_fp_ieee_invalid_op 0
		.amdhsa_exception_fp_denorm_src 0
		.amdhsa_exception_fp_ieee_div_zero 0
		.amdhsa_exception_fp_ieee_overflow 0
		.amdhsa_exception_fp_ieee_underflow 0
		.amdhsa_exception_fp_ieee_inexact 0
		.amdhsa_exception_int_div_zero 0
	.end_amdhsa_kernel
	.section	.text._ZL24rocblas_symm_hemm_kernelILb0ELb1ELi32EfPKPKfPKPfEvbiiT2_T3_lllS8_lllT4_llli,"axG",@progbits,_ZL24rocblas_symm_hemm_kernelILb0ELb1ELi32EfPKPKfPKPfEvbiiT2_T3_lllS8_lllT4_llli,comdat
.Lfunc_end37:
	.size	_ZL24rocblas_symm_hemm_kernelILb0ELb1ELi32EfPKPKfPKPfEvbiiT2_T3_lllS8_lllT4_llli, .Lfunc_end37-_ZL24rocblas_symm_hemm_kernelILb0ELb1ELi32EfPKPKfPKPfEvbiiT2_T3_lllS8_lllT4_llli
                                        ; -- End function
	.set _ZL24rocblas_symm_hemm_kernelILb0ELb1ELi32EfPKPKfPKPfEvbiiT2_T3_lllS8_lllT4_llli.num_vgpr, 34
	.set _ZL24rocblas_symm_hemm_kernelILb0ELb1ELi32EfPKPKfPKPfEvbiiT2_T3_lllS8_lllT4_llli.num_agpr, 0
	.set _ZL24rocblas_symm_hemm_kernelILb0ELb1ELi32EfPKPKfPKPfEvbiiT2_T3_lllS8_lllT4_llli.numbered_sgpr, 39
	.set _ZL24rocblas_symm_hemm_kernelILb0ELb1ELi32EfPKPKfPKPfEvbiiT2_T3_lllS8_lllT4_llli.num_named_barrier, 0
	.set _ZL24rocblas_symm_hemm_kernelILb0ELb1ELi32EfPKPKfPKPfEvbiiT2_T3_lllS8_lllT4_llli.private_seg_size, 0
	.set _ZL24rocblas_symm_hemm_kernelILb0ELb1ELi32EfPKPKfPKPfEvbiiT2_T3_lllS8_lllT4_llli.uses_vcc, 1
	.set _ZL24rocblas_symm_hemm_kernelILb0ELb1ELi32EfPKPKfPKPfEvbiiT2_T3_lllS8_lllT4_llli.uses_flat_scratch, 0
	.set _ZL24rocblas_symm_hemm_kernelILb0ELb1ELi32EfPKPKfPKPfEvbiiT2_T3_lllS8_lllT4_llli.has_dyn_sized_stack, 0
	.set _ZL24rocblas_symm_hemm_kernelILb0ELb1ELi32EfPKPKfPKPfEvbiiT2_T3_lllS8_lllT4_llli.has_recursion, 0
	.set _ZL24rocblas_symm_hemm_kernelILb0ELb1ELi32EfPKPKfPKPfEvbiiT2_T3_lllS8_lllT4_llli.has_indirect_call, 0
	.section	.AMDGPU.csdata,"",@progbits
; Kernel info:
; codeLenInByte = 1324
; TotalNumSgprs: 41
; NumVgprs: 34
; ScratchSize: 0
; MemoryBound: 0
; FloatMode: 240
; IeeeMode: 1
; LDSByteSize: 8192 bytes/workgroup (compile time only)
; SGPRBlocks: 0
; VGPRBlocks: 2
; NumSGPRsForWavesPerEU: 41
; NumVGPRsForWavesPerEU: 34
; NamedBarCnt: 0
; Occupancy: 16
; WaveLimiterHint : 1
; COMPUTE_PGM_RSRC2:SCRATCH_EN: 0
; COMPUTE_PGM_RSRC2:USER_SGPR: 2
; COMPUTE_PGM_RSRC2:TRAP_HANDLER: 0
; COMPUTE_PGM_RSRC2:TGID_X_EN: 1
; COMPUTE_PGM_RSRC2:TGID_Y_EN: 1
; COMPUTE_PGM_RSRC2:TGID_Z_EN: 1
; COMPUTE_PGM_RSRC2:TIDIG_COMP_CNT: 1
	.section	.text._ZL25rocblas_symm_scale_kernelILi128ELi8EPKdPKPdEviiT1_T2_llli,"axG",@progbits,_ZL25rocblas_symm_scale_kernelILi128ELi8EPKdPKPdEviiT1_T2_llli,comdat
	.globl	_ZL25rocblas_symm_scale_kernelILi128ELi8EPKdPKPdEviiT1_T2_llli ; -- Begin function _ZL25rocblas_symm_scale_kernelILi128ELi8EPKdPKPdEviiT1_T2_llli
	.p2align	8
	.type	_ZL25rocblas_symm_scale_kernelILi128ELi8EPKdPKPdEviiT1_T2_llli,@function
_ZL25rocblas_symm_scale_kernelILi128ELi8EPKdPKPdEviiT1_T2_llli: ; @_ZL25rocblas_symm_scale_kernelILi128ELi8EPKdPKPdEviiT1_T2_llli
; %bb.0:
	s_load_b256 s[4:11], s[0:1], 0x8
	s_wait_kmcnt 0x0
	s_load_b64 s[4:5], s[4:5], 0x0
	s_wait_kmcnt 0x0
	v_cmp_eq_f64_e64 s2, s[4:5], 1.0
	s_and_b32 vcc_lo, exec_lo, s2
	s_cbranch_vccnz .LBB38_10
; %bb.1:
	s_load_b32 s14, s[0:1], 0x30
	s_bfe_u32 s2, ttmp6, 0x40014
	s_lshr_b32 s3, ttmp7, 16
	s_add_co_i32 s2, s2, 1
	s_bfe_u32 s13, ttmp6, 0x40008
	s_mul_i32 s12, s3, s2
	s_getreg_b32 s2, hwreg(HW_REG_IB_STS2, 6, 4)
	s_add_co_i32 s13, s13, s12
	s_cmp_eq_u32 s2, 0
	s_cselect_b32 s15, s3, s13
	s_mov_b32 s3, 0
	s_wait_kmcnt 0x0
	s_cmp_ge_u32 s15, s14
	s_cbranch_scc1 .LBB38_10
; %bb.2:
	s_bfe_u32 s12, ttmp6, 0x40010
	s_bfe_u32 s16, ttmp6, 0x4000c
	s_and_b32 s13, ttmp7, 0xffff
	s_add_co_i32 s12, s12, 1
	s_add_co_i32 s16, s16, 1
	s_mul_i32 s12, s13, s12
	s_bfe_u32 s17, ttmp6, 0x40004
	s_and_b32 s18, ttmp6, 15
	s_mul_i32 s16, ttmp9, s16
	s_add_co_i32 s17, s17, s12
	s_add_co_i32 s18, s18, s16
	v_bfe_u32 v1, v0, 10, 10
	s_cmp_eq_u32 s2, 0
	v_mov_b32_e32 v3, 0
	s_cselect_b32 s2, s13, s17
	s_load_b64 s[12:13], s[0:1], 0x0
	v_lshl_add_u32 v2, s2, 3, v1
	s_cselect_b32 s2, ttmp9, s18
	s_lshl_b64 s[16:17], s[8:9], 3
	v_and_b32_e32 v0, 0x3ff, v0
	v_mov_b32_e32 v1, v3
	v_mul_u64_e32 v[4:5], s[10:11], v[2:3]
	s_wait_xcnt 0x0
	s_add_nc_u64 s[0:1], s[0:1], 56
	s_lshl_b64 s[10:11], s[10:11], 3
	v_lshl_add_u32 v0, s2, 7, v0
	s_wait_kmcnt 0x0
	s_ashr_i32 s9, s13, 31
	s_mov_b32 s8, s13
	s_delay_alu instid0(VALU_DEP_1) | instskip(SKIP_1) | instid1(VALU_DEP_4)
	v_cmp_gt_u32_e64 s2, s12, v0
	v_cmp_gt_i64_e32 vcc_lo, s[8:9], v[2:3]
	v_lshl_add_u64 v[4:5], v[4:5], 3, s[16:17]
	v_cmp_neq_f64_e64 s16, s[4:5], 0
	s_and_b32 s17, s2, vcc_lo
	v_lshl_add_u64 v[0:1], v[0:1], 3, v[4:5]
	s_branch .LBB38_4
.LBB38_3:                               ;   in Loop: Header=BB38_4 Depth=1
	s_or_b32 exec_lo, exec_lo, s18
	s_add_co_i32 s15, s15, 0x10000
	s_delay_alu instid0(SALU_CYCLE_1)
	s_cmp_lt_u32 s15, s14
	s_cbranch_scc0 .LBB38_10
.LBB38_4:                               ; =>This Loop Header: Depth=1
                                        ;     Child Loop BB38_8 Depth 2
	s_and_saveexec_b32 s18, s17
	s_cbranch_execz .LBB38_3
; %bb.5:                                ;   in Loop: Header=BB38_4 Depth=1
	s_load_b64 s[12:13], s[6:7], s15 offset:0x0 scale_offset
	s_load_b32 s2, s[0:1], 0x4
	v_mov_b64_e32 v[6:7], v[2:3]
	s_mov_b32 s19, 0
	s_wait_kmcnt 0x0
	v_add_nc_u64_e32 v[4:5], s[12:13], v[0:1]
	s_lshl_b32 s2, s2, 3
	s_delay_alu instid0(SALU_CYCLE_1)
	s_mul_u64 s[12:13], s[10:11], s[2:3]
	s_branch .LBB38_8
.LBB38_6:                               ;   in Loop: Header=BB38_8 Depth=2
	flat_load_b64 v[8:9], v[4:5]
	s_wait_loadcnt_dscnt 0x0
	v_mul_f64_e32 v[8:9], s[4:5], v[8:9]
.LBB38_7:                               ;   in Loop: Header=BB38_8 Depth=2
	v_add_nc_u64_e32 v[6:7], s[2:3], v[6:7]
	flat_store_b64 v[4:5], v[8:9]
	s_wait_xcnt 0x0
	v_add_nc_u64_e32 v[4:5], s[12:13], v[4:5]
	v_cmp_le_i64_e32 vcc_lo, s[8:9], v[6:7]
	s_or_b32 s19, vcc_lo, s19
	s_delay_alu instid0(SALU_CYCLE_1)
	s_and_not1_b32 exec_lo, exec_lo, s19
	s_cbranch_execz .LBB38_3
.LBB38_8:                               ;   Parent Loop BB38_4 Depth=1
                                        ; =>  This Inner Loop Header: Depth=2
	s_and_not1_b32 vcc_lo, exec_lo, s16
	s_cbranch_vccz .LBB38_6
; %bb.9:                                ;   in Loop: Header=BB38_8 Depth=2
	v_mov_b64_e32 v[8:9], 0
	s_branch .LBB38_7
.LBB38_10:
	s_endpgm
	.section	.rodata,"a",@progbits
	.p2align	6, 0x0
	.amdhsa_kernel _ZL25rocblas_symm_scale_kernelILi128ELi8EPKdPKPdEviiT1_T2_llli
		.amdhsa_group_segment_fixed_size 0
		.amdhsa_private_segment_fixed_size 0
		.amdhsa_kernarg_size 312
		.amdhsa_user_sgpr_count 2
		.amdhsa_user_sgpr_dispatch_ptr 0
		.amdhsa_user_sgpr_queue_ptr 0
		.amdhsa_user_sgpr_kernarg_segment_ptr 1
		.amdhsa_user_sgpr_dispatch_id 0
		.amdhsa_user_sgpr_kernarg_preload_length 0
		.amdhsa_user_sgpr_kernarg_preload_offset 0
		.amdhsa_user_sgpr_private_segment_size 0
		.amdhsa_wavefront_size32 1
		.amdhsa_uses_dynamic_stack 0
		.amdhsa_enable_private_segment 0
		.amdhsa_system_sgpr_workgroup_id_x 1
		.amdhsa_system_sgpr_workgroup_id_y 1
		.amdhsa_system_sgpr_workgroup_id_z 1
		.amdhsa_system_sgpr_workgroup_info 0
		.amdhsa_system_vgpr_workitem_id 1
		.amdhsa_next_free_vgpr 10
		.amdhsa_next_free_sgpr 20
		.amdhsa_named_barrier_count 0
		.amdhsa_reserve_vcc 1
		.amdhsa_float_round_mode_32 0
		.amdhsa_float_round_mode_16_64 0
		.amdhsa_float_denorm_mode_32 3
		.amdhsa_float_denorm_mode_16_64 3
		.amdhsa_fp16_overflow 0
		.amdhsa_memory_ordered 1
		.amdhsa_forward_progress 1
		.amdhsa_inst_pref_size 4
		.amdhsa_round_robin_scheduling 0
		.amdhsa_exception_fp_ieee_invalid_op 0
		.amdhsa_exception_fp_denorm_src 0
		.amdhsa_exception_fp_ieee_div_zero 0
		.amdhsa_exception_fp_ieee_overflow 0
		.amdhsa_exception_fp_ieee_underflow 0
		.amdhsa_exception_fp_ieee_inexact 0
		.amdhsa_exception_int_div_zero 0
	.end_amdhsa_kernel
	.section	.text._ZL25rocblas_symm_scale_kernelILi128ELi8EPKdPKPdEviiT1_T2_llli,"axG",@progbits,_ZL25rocblas_symm_scale_kernelILi128ELi8EPKdPKPdEviiT1_T2_llli,comdat
.Lfunc_end38:
	.size	_ZL25rocblas_symm_scale_kernelILi128ELi8EPKdPKPdEviiT1_T2_llli, .Lfunc_end38-_ZL25rocblas_symm_scale_kernelILi128ELi8EPKdPKPdEviiT1_T2_llli
                                        ; -- End function
	.set _ZL25rocblas_symm_scale_kernelILi128ELi8EPKdPKPdEviiT1_T2_llli.num_vgpr, 10
	.set _ZL25rocblas_symm_scale_kernelILi128ELi8EPKdPKPdEviiT1_T2_llli.num_agpr, 0
	.set _ZL25rocblas_symm_scale_kernelILi128ELi8EPKdPKPdEviiT1_T2_llli.numbered_sgpr, 20
	.set _ZL25rocblas_symm_scale_kernelILi128ELi8EPKdPKPdEviiT1_T2_llli.num_named_barrier, 0
	.set _ZL25rocblas_symm_scale_kernelILi128ELi8EPKdPKPdEviiT1_T2_llli.private_seg_size, 0
	.set _ZL25rocblas_symm_scale_kernelILi128ELi8EPKdPKPdEviiT1_T2_llli.uses_vcc, 1
	.set _ZL25rocblas_symm_scale_kernelILi128ELi8EPKdPKPdEviiT1_T2_llli.uses_flat_scratch, 0
	.set _ZL25rocblas_symm_scale_kernelILi128ELi8EPKdPKPdEviiT1_T2_llli.has_dyn_sized_stack, 0
	.set _ZL25rocblas_symm_scale_kernelILi128ELi8EPKdPKPdEviiT1_T2_llli.has_recursion, 0
	.set _ZL25rocblas_symm_scale_kernelILi128ELi8EPKdPKPdEviiT1_T2_llli.has_indirect_call, 0
	.section	.AMDGPU.csdata,"",@progbits
; Kernel info:
; codeLenInByte = 472
; TotalNumSgprs: 22
; NumVgprs: 10
; ScratchSize: 0
; MemoryBound: 1
; FloatMode: 240
; IeeeMode: 1
; LDSByteSize: 0 bytes/workgroup (compile time only)
; SGPRBlocks: 0
; VGPRBlocks: 0
; NumSGPRsForWavesPerEU: 22
; NumVGPRsForWavesPerEU: 10
; NamedBarCnt: 0
; Occupancy: 16
; WaveLimiterHint : 0
; COMPUTE_PGM_RSRC2:SCRATCH_EN: 0
; COMPUTE_PGM_RSRC2:USER_SGPR: 2
; COMPUTE_PGM_RSRC2:TRAP_HANDLER: 0
; COMPUTE_PGM_RSRC2:TGID_X_EN: 1
; COMPUTE_PGM_RSRC2:TGID_Y_EN: 1
; COMPUTE_PGM_RSRC2:TGID_Z_EN: 1
; COMPUTE_PGM_RSRC2:TIDIG_COMP_CNT: 1
	.section	.text._ZL24rocblas_symm_hemm_kernelILb0ELb0ELi32EPKdPKS1_PKPdEvbiiT2_T3_lllS8_lllT4_llli,"axG",@progbits,_ZL24rocblas_symm_hemm_kernelILb0ELb0ELi32EPKdPKS1_PKPdEvbiiT2_T3_lllS8_lllT4_llli,comdat
	.globl	_ZL24rocblas_symm_hemm_kernelILb0ELb0ELi32EPKdPKS1_PKPdEvbiiT2_T3_lllS8_lllT4_llli ; -- Begin function _ZL24rocblas_symm_hemm_kernelILb0ELb0ELi32EPKdPKS1_PKPdEvbiiT2_T3_lllS8_lllT4_llli
	.p2align	8
	.type	_ZL24rocblas_symm_hemm_kernelILb0ELb0ELi32EPKdPKS1_PKPdEvbiiT2_T3_lllS8_lllT4_llli,@function
_ZL24rocblas_symm_hemm_kernelILb0ELb0ELi32EPKdPKS1_PKPdEvbiiT2_T3_lllS8_lllT4_llli: ; @_ZL24rocblas_symm_hemm_kernelILb0ELb0ELi32EPKdPKS1_PKPdEvbiiT2_T3_lllS8_lllT4_llli
; %bb.0:
	s_load_b256 s[4:11], s[0:1], 0x10
	s_wait_kmcnt 0x0
	s_load_b64 s[4:5], s[4:5], 0x0
	s_wait_kmcnt 0x0
	v_cmp_eq_f64_e64 s2, s[4:5], 0
	s_and_b32 vcc_lo, exec_lo, s2
	s_cbranch_vccnz .LBB39_16
; %bb.1:
	s_load_b32 s3, s[0:1], 0x78
	s_bfe_u32 s2, ttmp6, 0x40014
	s_lshr_b32 s12, ttmp7, 16
	s_add_co_i32 s2, s2, 1
	s_bfe_u32 s14, ttmp6, 0x40008
	s_mul_i32 s13, s12, s2
	s_getreg_b32 s2, hwreg(HW_REG_IB_STS2, 6, 4)
	s_add_co_i32 s14, s14, s13
	s_cmp_eq_u32 s2, 0
	s_cselect_b32 s23, s12, s14
	s_wait_kmcnt 0x0
	s_cmp_ge_u32 s23, s3
	s_cbranch_scc1 .LBB39_16
; %bb.2:
	s_clause 0x4
	s_load_b96 s[20:22], s[0:1], 0x0
	s_load_b128 s[12:15], s[0:1], 0x38
	s_load_b64 s[24:25], s[0:1], 0x68
	s_load_b64 s[26:27], s[0:1], 0x48
	s_load_b128 s[16:19], s[0:1], 0x58
	s_add_nc_u64 s[28:29], s[0:1], 0x80
	v_and_b32_e32 v16, 0x3ff, v0
	v_bfe_u32 v17, v0, 10, 10
	s_delay_alu instid0(VALU_DEP_1) | instskip(NEXT) | instid1(VALU_DEP_1)
	v_dual_lshlrev_b32 v18, 8, v16 :: v_dual_lshlrev_b32 v0, 3, v17
	v_or_b32_e32 v20, 0x2000, v0
	s_delay_alu instid0(VALU_DEP_1)
	v_dual_add_nc_u32 v19, v18, v0 :: v_dual_add_nc_u32 v21, v20, v18
	s_wait_kmcnt 0x0
	s_bitcmp1_b32 s20, 0
	v_add_nc_u32_e32 v22, 0x800, v20
	s_cselect_b32 s0, -1, 0
	s_add_co_i32 s1, s22, -1
	s_bfe_u32 s30, ttmp6, 0x4000c
	s_bfe_u32 s33, ttmp6, 0x40010
	s_ashr_i32 s35, s1, 31
	s_and_b32 s31, ttmp7, 0xffff
	s_add_co_i32 s30, s30, 1
	s_add_co_i32 s33, s33, 1
	s_lshr_b32 s35, s35, 27
	s_and_b32 s20, ttmp6, 15
	s_bfe_u32 s34, ttmp6, 0x40004
	s_mul_i32 s30, ttmp9, s30
	s_mul_i32 s33, s31, s33
	s_add_co_i32 s1, s1, s35
	s_add_co_i32 s30, s20, s30
	;; [unrolled: 1-line block ×3, first 2 shown]
	s_ashr_i32 s20, s1, 5
	s_cmp_eq_u32 s2, 0
	v_add_nc_u32_e32 v23, 0x1000, v20
	s_cselect_b32 s1, ttmp9, s30
	s_cselect_b32 s33, s31, s34
	v_lshl_add_u32 v0, s1, 5, v16
	s_cmp_le_i32 s33, s20
	v_add_nc_u32_e32 v24, 0x1800, v20
	s_cselect_b32 s36, -1, 0
	s_cmp_gt_i32 s21, 0
	v_cmp_gt_i32_e64 s1, s21, v0
	v_ashrrev_i32_e32 v1, 31, v0
	s_cselect_b32 s37, -1, 0
	s_lshl_b64 s[8:9], s[8:9], 3
	s_lshl_b64 s[14:15], s[14:15], 3
	;; [unrolled: 1-line block ×3, first 2 shown]
	s_branch .LBB39_4
.LBB39_3:                               ;   in Loop: Header=BB39_4 Depth=1
	s_add_co_i32 s23, s23, 0x10000
	s_delay_alu instid0(SALU_CYCLE_1)
	s_cmp_lt_u32 s23, s3
	s_cbranch_scc0 .LBB39_16
.LBB39_4:                               ; =>This Loop Header: Depth=1
                                        ;     Child Loop BB39_7 Depth 2
                                        ;       Child Loop BB39_10 Depth 3
	s_and_not1_b32 vcc_lo, exec_lo, s36
	s_cbranch_vccnz .LBB39_3
; %bb.5:                                ;   in Loop: Header=BB39_4 Depth=1
	s_load_b64 s[30:31], s[16:17], s23 offset:0x0 scale_offset
	s_load_b64 s[34:35], s[6:7], s23 offset:0x0 scale_offset
	;; [unrolled: 1-line block ×3, first 2 shown]
	s_load_b32 s38, s[28:29], 0x4
	s_mov_b32 s39, s33
	s_wait_kmcnt 0x0
	s_add_nc_u64 s[30:31], s[30:31], s[18:19]
	s_delay_alu instid0(SALU_CYCLE_1)
	v_lshl_add_u64 v[2:3], v[0:1], 3, s[30:31]
	s_add_nc_u64 s[30:31], s[34:35], s[8:9]
	s_add_nc_u64 s[34:35], s[40:41], s[14:15]
	s_branch .LBB39_7
.LBB39_6:                               ;   in Loop: Header=BB39_7 Depth=2
	s_add_co_i32 s39, s39, s38
	s_delay_alu instid0(SALU_CYCLE_1)
	s_cmp_gt_i32 s39, s20
	s_cbranch_scc1 .LBB39_3
.LBB39_7:                               ;   Parent Loop BB39_4 Depth=1
                                        ; =>  This Loop Header: Depth=2
                                        ;       Child Loop BB39_10 Depth 3
	s_and_not1_b32 vcc_lo, exec_lo, s37
	s_cbranch_vccnz .LBB39_6
; %bb.8:                                ;   in Loop: Header=BB39_7 Depth=2
	v_lshl_add_u32 v4, s39, 5, v17
	s_mov_b32 s41, 0
	s_delay_alu instid0(VALU_DEP_1) | instskip(SKIP_1) | instid1(VALU_DEP_2)
	v_ashrrev_i32_e32 v5, 31, v4
	v_cmp_gt_i32_e32 vcc_lo, s22, v4
	v_mul_u64_e32 v[6:7], s[26:27], v[4:5]
	v_mul_u64_e32 v[8:9], s[24:25], v[4:5]
	s_and_b32 s40, s1, vcc_lo
	s_delay_alu instid0(VALU_DEP_2) | instskip(NEXT) | instid1(VALU_DEP_2)
	v_lshl_add_u64 v[4:5], v[6:7], 3, s[34:35]
	v_lshl_add_u64 v[6:7], v[8:9], 3, v[2:3]
	s_branch .LBB39_10
.LBB39_9:                               ;   in Loop: Header=BB39_10 Depth=3
	s_wait_xcnt 0x0
	s_or_b32 exec_lo, exec_lo, s2
	s_add_co_i32 s41, s41, 32
	s_wait_storecnt_dscnt 0x0
	s_cmp_ge_i32 s41, s21
	s_barrier_signal -1
	s_barrier_wait -1
	s_cbranch_scc1 .LBB39_6
.LBB39_10:                              ;   Parent Loop BB39_4 Depth=1
                                        ;     Parent Loop BB39_7 Depth=2
                                        ; =>    This Inner Loop Header: Depth=3
	v_add_nc_u32_e32 v8, s41, v17
	v_mov_b64_e32 v[12:13], 0
	s_mov_b32 s42, exec_lo
	s_delay_alu instid0(VALU_DEP_2) | instskip(SKIP_1) | instid1(VALU_DEP_1)
	v_cndmask_b32_e64 v9, v8, v0, s0
	v_cndmask_b32_e64 v10, v0, v8, s0
	v_cmp_gt_i32_e64 s2, v9, v10
	s_delay_alu instid0(VALU_DEP_1) | instskip(SKIP_2) | instid1(VALU_DEP_2)
	v_cndmask_b32_e64 v10, v0, v8, s2
	v_cndmask_b32_e64 v14, v8, v0, s2
	v_mov_b64_e32 v[8:9], 0
	v_max_i32_e32 v11, v10, v14
	s_delay_alu instid0(VALU_DEP_1)
	v_cmpx_gt_i32_e64 s21, v11
	s_cbranch_execz .LBB39_12
; %bb.11:                               ;   in Loop: Header=BB39_10 Depth=3
	v_ashrrev_i32_e32 v15, 31, v14
	v_ashrrev_i32_e32 v11, 31, v10
	s_delay_alu instid0(VALU_DEP_2) | instskip(NEXT) | instid1(VALU_DEP_1)
	v_mul_u64_e32 v[12:13], s[10:11], v[14:15]
	v_lshl_add_u64 v[12:13], v[12:13], 3, s[30:31]
	s_delay_alu instid0(VALU_DEP_1)
	v_lshl_add_u64 v[10:11], v[10:11], 3, v[12:13]
	flat_load_b64 v[12:13], v[10:11]
.LBB39_12:                              ;   in Loop: Header=BB39_10 Depth=3
	s_wait_xcnt 0x0
	s_or_b32 exec_lo, exec_lo, s42
	v_add_nc_u32_e32 v10, s41, v16
	s_wait_loadcnt_dscnt 0x0
	ds_store_b64 v19, v[12:13]
	v_cmp_gt_i32_e64 s2, s21, v10
	s_and_b32 s42, s2, vcc_lo
	s_delay_alu instid0(SALU_CYCLE_1)
	s_and_saveexec_b32 s2, s42
	s_cbranch_execz .LBB39_14
; %bb.13:                               ;   in Loop: Header=BB39_10 Depth=3
	v_ashrrev_i32_e32 v11, 31, v10
	s_delay_alu instid0(VALU_DEP_1)
	v_lshl_add_u64 v[8:9], v[10:11], 3, v[4:5]
	flat_load_b64 v[8:9], v[8:9]
.LBB39_14:                              ;   in Loop: Header=BB39_10 Depth=3
	s_wait_xcnt 0x0
	s_or_b32 exec_lo, exec_lo, s2
	s_wait_loadcnt_dscnt 0x0
	ds_store_b64 v21, v[8:9]
	s_wait_dscnt 0x0
	s_barrier_signal -1
	s_barrier_wait -1
	s_and_saveexec_b32 s2, s40
	s_cbranch_execz .LBB39_9
; %bb.15:                               ;   in Loop: Header=BB39_10 Depth=3
	ds_load_2addr_b64 v[8:11], v20 offset1:32
	ds_load_b128 v[12:15], v18
	ds_load_b128 v[26:29], v18 offset:16
	s_wait_dscnt 0x1
	v_fma_f64 v[8:9], v[12:13], v[8:9], 0
	s_delay_alu instid0(VALU_DEP_1) | instskip(SKIP_3) | instid1(VALU_DEP_1)
	v_fmac_f64_e32 v[8:9], v[14:15], v[10:11]
	ds_load_2addr_b64 v[10:13], v20 offset0:64 offset1:96
	s_wait_dscnt 0x0
	v_fmac_f64_e32 v[8:9], v[26:27], v[10:11]
	v_fmac_f64_e32 v[8:9], v[28:29], v[12:13]
	ds_load_2addr_b64 v[10:13], v20 offset0:128 offset1:160
	ds_load_b128 v[26:29], v18 offset:32
	ds_load_b128 v[30:33], v18 offset:48
	s_wait_dscnt 0x1
	v_fmac_f64_e32 v[8:9], v[26:27], v[10:11]
	s_delay_alu instid0(VALU_DEP_1) | instskip(SKIP_3) | instid1(VALU_DEP_1)
	v_fmac_f64_e32 v[8:9], v[28:29], v[12:13]
	ds_load_2addr_b64 v[10:13], v20 offset0:192 offset1:224
	s_wait_dscnt 0x0
	v_fmac_f64_e32 v[8:9], v[30:31], v[10:11]
	v_fmac_f64_e32 v[8:9], v[32:33], v[12:13]
	ds_load_2addr_b64 v[10:13], v22 offset1:32
	ds_load_b128 v[26:29], v18 offset:64
	ds_load_b128 v[30:33], v18 offset:80
	s_wait_dscnt 0x1
	v_fmac_f64_e32 v[8:9], v[26:27], v[10:11]
	s_delay_alu instid0(VALU_DEP_1) | instskip(SKIP_3) | instid1(VALU_DEP_1)
	v_fmac_f64_e32 v[8:9], v[28:29], v[12:13]
	ds_load_2addr_b64 v[10:13], v22 offset0:64 offset1:96
	s_wait_dscnt 0x0
	v_fmac_f64_e32 v[8:9], v[30:31], v[10:11]
	v_fmac_f64_e32 v[8:9], v[32:33], v[12:13]
	ds_load_2addr_b64 v[10:13], v22 offset0:128 offset1:160
	ds_load_b128 v[26:29], v18 offset:96
	ds_load_b128 v[30:33], v18 offset:112
	s_wait_dscnt 0x1
	v_fmac_f64_e32 v[8:9], v[26:27], v[10:11]
	s_delay_alu instid0(VALU_DEP_1) | instskip(SKIP_3) | instid1(VALU_DEP_1)
	v_fmac_f64_e32 v[8:9], v[28:29], v[12:13]
	ds_load_2addr_b64 v[10:13], v22 offset0:192 offset1:224
	s_wait_dscnt 0x0
	v_fmac_f64_e32 v[8:9], v[30:31], v[10:11]
	v_fmac_f64_e32 v[8:9], v[32:33], v[12:13]
	ds_load_2addr_b64 v[10:13], v23 offset1:32
	ds_load_b128 v[26:29], v18 offset:128
	ds_load_b128 v[30:33], v18 offset:144
	s_wait_dscnt 0x1
	v_fmac_f64_e32 v[8:9], v[26:27], v[10:11]
	s_delay_alu instid0(VALU_DEP_1) | instskip(SKIP_3) | instid1(VALU_DEP_1)
	v_fmac_f64_e32 v[8:9], v[28:29], v[12:13]
	ds_load_2addr_b64 v[10:13], v23 offset0:64 offset1:96
	s_wait_dscnt 0x0
	v_fmac_f64_e32 v[8:9], v[30:31], v[10:11]
	v_fmac_f64_e32 v[8:9], v[32:33], v[12:13]
	ds_load_2addr_b64 v[10:13], v23 offset0:128 offset1:160
	ds_load_b128 v[26:29], v18 offset:160
	ds_load_b128 v[30:33], v18 offset:176
	flat_load_b64 v[14:15], v[6:7]
	s_wait_dscnt 0x2
	v_fmac_f64_e32 v[8:9], v[26:27], v[10:11]
	s_delay_alu instid0(VALU_DEP_1) | instskip(SKIP_3) | instid1(VALU_DEP_1)
	v_fmac_f64_e32 v[8:9], v[28:29], v[12:13]
	ds_load_2addr_b64 v[10:13], v23 offset0:192 offset1:224
	s_wait_dscnt 0x0
	v_fmac_f64_e32 v[8:9], v[30:31], v[10:11]
	v_fmac_f64_e32 v[8:9], v[32:33], v[12:13]
	ds_load_2addr_b64 v[10:13], v24 offset1:32
	ds_load_b128 v[26:29], v18 offset:192
	ds_load_b128 v[30:33], v18 offset:208
	s_wait_dscnt 0x1
	v_fmac_f64_e32 v[8:9], v[26:27], v[10:11]
	s_delay_alu instid0(VALU_DEP_1) | instskip(SKIP_3) | instid1(VALU_DEP_1)
	v_fmac_f64_e32 v[8:9], v[28:29], v[12:13]
	ds_load_2addr_b64 v[10:13], v24 offset0:64 offset1:96
	s_wait_dscnt 0x0
	v_fmac_f64_e32 v[8:9], v[30:31], v[10:11]
	v_fmac_f64_e32 v[8:9], v[32:33], v[12:13]
	ds_load_2addr_b64 v[10:13], v24 offset0:128 offset1:160
	ds_load_b128 v[26:29], v18 offset:224
	ds_load_b128 v[30:33], v18 offset:240
	s_wait_dscnt 0x1
	v_fmac_f64_e32 v[8:9], v[26:27], v[10:11]
	s_delay_alu instid0(VALU_DEP_1) | instskip(SKIP_3) | instid1(VALU_DEP_1)
	v_fmac_f64_e32 v[8:9], v[28:29], v[12:13]
	ds_load_2addr_b64 v[10:13], v24 offset0:192 offset1:224
	s_wait_dscnt 0x0
	v_fmac_f64_e32 v[8:9], v[30:31], v[10:11]
	v_fmac_f64_e32 v[8:9], v[32:33], v[12:13]
	s_wait_loadcnt 0x0
	s_delay_alu instid0(VALU_DEP_1)
	v_fmac_f64_e32 v[14:15], s[4:5], v[8:9]
	flat_store_b64 v[6:7], v[14:15]
	s_branch .LBB39_9
.LBB39_16:
	s_endpgm
	.section	.rodata,"a",@progbits
	.p2align	6, 0x0
	.amdhsa_kernel _ZL24rocblas_symm_hemm_kernelILb0ELb0ELi32EPKdPKS1_PKPdEvbiiT2_T3_lllS8_lllT4_llli
		.amdhsa_group_segment_fixed_size 16384
		.amdhsa_private_segment_fixed_size 0
		.amdhsa_kernarg_size 384
		.amdhsa_user_sgpr_count 2
		.amdhsa_user_sgpr_dispatch_ptr 0
		.amdhsa_user_sgpr_queue_ptr 0
		.amdhsa_user_sgpr_kernarg_segment_ptr 1
		.amdhsa_user_sgpr_dispatch_id 0
		.amdhsa_user_sgpr_kernarg_preload_length 0
		.amdhsa_user_sgpr_kernarg_preload_offset 0
		.amdhsa_user_sgpr_private_segment_size 0
		.amdhsa_wavefront_size32 1
		.amdhsa_uses_dynamic_stack 0
		.amdhsa_enable_private_segment 0
		.amdhsa_system_sgpr_workgroup_id_x 1
		.amdhsa_system_sgpr_workgroup_id_y 1
		.amdhsa_system_sgpr_workgroup_id_z 1
		.amdhsa_system_sgpr_workgroup_info 0
		.amdhsa_system_vgpr_workitem_id 1
		.amdhsa_next_free_vgpr 34
		.amdhsa_next_free_sgpr 43
		.amdhsa_named_barrier_count 0
		.amdhsa_reserve_vcc 1
		.amdhsa_float_round_mode_32 0
		.amdhsa_float_round_mode_16_64 0
		.amdhsa_float_denorm_mode_32 3
		.amdhsa_float_denorm_mode_16_64 3
		.amdhsa_fp16_overflow 0
		.amdhsa_memory_ordered 1
		.amdhsa_forward_progress 1
		.amdhsa_inst_pref_size 11
		.amdhsa_round_robin_scheduling 0
		.amdhsa_exception_fp_ieee_invalid_op 0
		.amdhsa_exception_fp_denorm_src 0
		.amdhsa_exception_fp_ieee_div_zero 0
		.amdhsa_exception_fp_ieee_overflow 0
		.amdhsa_exception_fp_ieee_underflow 0
		.amdhsa_exception_fp_ieee_inexact 0
		.amdhsa_exception_int_div_zero 0
	.end_amdhsa_kernel
	.section	.text._ZL24rocblas_symm_hemm_kernelILb0ELb0ELi32EPKdPKS1_PKPdEvbiiT2_T3_lllS8_lllT4_llli,"axG",@progbits,_ZL24rocblas_symm_hemm_kernelILb0ELb0ELi32EPKdPKS1_PKPdEvbiiT2_T3_lllS8_lllT4_llli,comdat
.Lfunc_end39:
	.size	_ZL24rocblas_symm_hemm_kernelILb0ELb0ELi32EPKdPKS1_PKPdEvbiiT2_T3_lllS8_lllT4_llli, .Lfunc_end39-_ZL24rocblas_symm_hemm_kernelILb0ELb0ELi32EPKdPKS1_PKPdEvbiiT2_T3_lllS8_lllT4_llli
                                        ; -- End function
	.set _ZL24rocblas_symm_hemm_kernelILb0ELb0ELi32EPKdPKS1_PKPdEvbiiT2_T3_lllS8_lllT4_llli.num_vgpr, 34
	.set _ZL24rocblas_symm_hemm_kernelILb0ELb0ELi32EPKdPKS1_PKPdEvbiiT2_T3_lllS8_lllT4_llli.num_agpr, 0
	.set _ZL24rocblas_symm_hemm_kernelILb0ELb0ELi32EPKdPKS1_PKPdEvbiiT2_T3_lllS8_lllT4_llli.numbered_sgpr, 43
	.set _ZL24rocblas_symm_hemm_kernelILb0ELb0ELi32EPKdPKS1_PKPdEvbiiT2_T3_lllS8_lllT4_llli.num_named_barrier, 0
	.set _ZL24rocblas_symm_hemm_kernelILb0ELb0ELi32EPKdPKS1_PKPdEvbiiT2_T3_lllS8_lllT4_llli.private_seg_size, 0
	.set _ZL24rocblas_symm_hemm_kernelILb0ELb0ELi32EPKdPKS1_PKPdEvbiiT2_T3_lllS8_lllT4_llli.uses_vcc, 1
	.set _ZL24rocblas_symm_hemm_kernelILb0ELb0ELi32EPKdPKS1_PKPdEvbiiT2_T3_lllS8_lllT4_llli.uses_flat_scratch, 0
	.set _ZL24rocblas_symm_hemm_kernelILb0ELb0ELi32EPKdPKS1_PKPdEvbiiT2_T3_lllS8_lllT4_llli.has_dyn_sized_stack, 0
	.set _ZL24rocblas_symm_hemm_kernelILb0ELb0ELi32EPKdPKS1_PKPdEvbiiT2_T3_lllS8_lllT4_llli.has_recursion, 0
	.set _ZL24rocblas_symm_hemm_kernelILb0ELb0ELi32EPKdPKS1_PKPdEvbiiT2_T3_lllS8_lllT4_llli.has_indirect_call, 0
	.section	.AMDGPU.csdata,"",@progbits
; Kernel info:
; codeLenInByte = 1380
; TotalNumSgprs: 45
; NumVgprs: 34
; ScratchSize: 0
; MemoryBound: 0
; FloatMode: 240
; IeeeMode: 1
; LDSByteSize: 16384 bytes/workgroup (compile time only)
; SGPRBlocks: 0
; VGPRBlocks: 2
; NumSGPRsForWavesPerEU: 45
; NumVGPRsForWavesPerEU: 34
; NamedBarCnt: 0
; Occupancy: 16
; WaveLimiterHint : 1
; COMPUTE_PGM_RSRC2:SCRATCH_EN: 0
; COMPUTE_PGM_RSRC2:USER_SGPR: 2
; COMPUTE_PGM_RSRC2:TRAP_HANDLER: 0
; COMPUTE_PGM_RSRC2:TGID_X_EN: 1
; COMPUTE_PGM_RSRC2:TGID_Y_EN: 1
; COMPUTE_PGM_RSRC2:TGID_Z_EN: 1
; COMPUTE_PGM_RSRC2:TIDIG_COMP_CNT: 1
	.section	.text._ZL24rocblas_symm_hemm_kernelILb0ELb1ELi32EPKdPKS1_PKPdEvbiiT2_T3_lllS8_lllT4_llli,"axG",@progbits,_ZL24rocblas_symm_hemm_kernelILb0ELb1ELi32EPKdPKS1_PKPdEvbiiT2_T3_lllS8_lllT4_llli,comdat
	.globl	_ZL24rocblas_symm_hemm_kernelILb0ELb1ELi32EPKdPKS1_PKPdEvbiiT2_T3_lllS8_lllT4_llli ; -- Begin function _ZL24rocblas_symm_hemm_kernelILb0ELb1ELi32EPKdPKS1_PKPdEvbiiT2_T3_lllS8_lllT4_llli
	.p2align	8
	.type	_ZL24rocblas_symm_hemm_kernelILb0ELb1ELi32EPKdPKS1_PKPdEvbiiT2_T3_lllS8_lllT4_llli,@function
_ZL24rocblas_symm_hemm_kernelILb0ELb1ELi32EPKdPKS1_PKPdEvbiiT2_T3_lllS8_lllT4_llli: ; @_ZL24rocblas_symm_hemm_kernelILb0ELb1ELi32EPKdPKS1_PKPdEvbiiT2_T3_lllS8_lllT4_llli
; %bb.0:
	s_load_b256 s[4:11], s[0:1], 0x10
	s_wait_kmcnt 0x0
	s_load_b64 s[2:3], s[4:5], 0x0
	s_wait_kmcnt 0x0
	v_cmp_eq_f64_e64 s4, s[2:3], 0
	s_and_b32 vcc_lo, exec_lo, s4
	s_cbranch_vccnz .LBB40_16
; %bb.1:
	s_load_b32 s23, s[0:1], 0x78
	s_bfe_u32 s4, ttmp6, 0x40014
	s_lshr_b32 s5, ttmp7, 16
	s_add_co_i32 s4, s4, 1
	s_bfe_u32 s12, ttmp6, 0x40008
	s_mul_i32 s4, s5, s4
	s_getreg_b32 s30, hwreg(HW_REG_IB_STS2, 6, 4)
	s_add_co_i32 s12, s12, s4
	s_cmp_eq_u32 s30, 0
	s_cselect_b32 s28, s5, s12
	s_wait_kmcnt 0x0
	s_cmp_ge_u32 s28, s23
	s_cbranch_scc1 .LBB40_16
; %bb.2:
	s_clause 0x4
	s_load_b96 s[20:22], s[0:1], 0x0
	s_load_b128 s[12:15], s[0:1], 0x38
	s_load_b64 s[4:5], s[0:1], 0x68
	s_load_b64 s[24:25], s[0:1], 0x48
	s_load_b128 s[16:19], s[0:1], 0x58
	s_add_nc_u64 s[26:27], s[0:1], 0x80
	v_and_b32_e32 v18, 0x3ff, v0
	v_bfe_u32 v19, v0, 10, 10
	s_delay_alu instid0(VALU_DEP_1) | instskip(NEXT) | instid1(VALU_DEP_1)
	v_dual_lshlrev_b32 v20, 8, v18 :: v_dual_lshlrev_b32 v0, 3, v19
	v_add_nc_u32_e32 v21, v20, v0
	v_or_b32_e32 v22, 0x2000, v0
	s_wait_kmcnt 0x0
	s_bitcmp1_b32 s20, 0
	s_delay_alu instid0(VALU_DEP_1)
	v_add_nc_u32_e32 v23, v22, v20
	s_cselect_b32 s0, -1, 0
	s_add_co_i32 s1, s22, -1
	s_bfe_u32 s29, ttmp6, 0x4000c
	s_bfe_u32 s33, ttmp6, 0x40010
	s_ashr_i32 s35, s1, 31
	s_and_b32 s31, ttmp7, 0xffff
	s_add_co_i32 s29, s29, 1
	s_add_co_i32 s33, s33, 1
	s_lshr_b32 s35, s35, 27
	s_and_b32 s20, ttmp6, 15
	s_bfe_u32 s34, ttmp6, 0x40004
	s_mul_i32 s29, ttmp9, s29
	s_mul_i32 s33, s31, s33
	s_add_co_i32 s1, s1, s35
	s_add_co_i32 s20, s20, s29
	;; [unrolled: 1-line block ×3, first 2 shown]
	s_ashr_i32 s29, s1, 5
	s_cmp_eq_u32 s30, 0
	v_add_nc_u32_e32 v24, 0x800, v22
	s_cselect_b32 s1, ttmp9, s20
	s_cselect_b32 s30, s31, s34
	v_lshl_add_u32 v0, s1, 5, v18
	s_cmp_le_i32 s30, s29
	v_add_nc_u32_e32 v25, 0x1000, v22
	v_add_nc_u32_e32 v26, 0x1800, v22
	s_cselect_b32 s31, -1, 0
	v_ashrrev_i32_e32 v1, 31, v0
	v_cmp_gt_i32_e64 s1, s21, v0
	s_cmp_gt_i32 s22, 0
	s_cselect_b32 s33, -1, 0
	v_lshlrev_b64_e32 v[0:1], 3, v[0:1]
	s_lshl_b64 s[8:9], s[8:9], 3
	s_lshl_b64 s[18:19], s[18:19], 3
	;; [unrolled: 1-line block ×3, first 2 shown]
	s_branch .LBB40_4
.LBB40_3:                               ;   in Loop: Header=BB40_4 Depth=1
	s_add_co_i32 s28, s28, 0x10000
	s_delay_alu instid0(SALU_CYCLE_1)
	s_cmp_lt_u32 s28, s23
	s_cbranch_scc0 .LBB40_16
.LBB40_4:                               ; =>This Loop Header: Depth=1
                                        ;     Child Loop BB40_7 Depth 2
                                        ;       Child Loop BB40_10 Depth 3
	s_and_not1_b32 vcc_lo, exec_lo, s31
	s_cbranch_vccnz .LBB40_3
; %bb.5:                                ;   in Loop: Header=BB40_4 Depth=1
	s_load_b64 s[20:21], s[12:13], s28 offset:0x0 scale_offset
	s_load_b64 s[36:37], s[16:17], s28 offset:0x0 scale_offset
	s_load_b64 s[38:39], s[6:7], s28 offset:0x0 scale_offset
	s_load_b32 s34, s[26:27], 0x4
	s_mov_b32 s35, s30
	s_wait_kmcnt 0x0
	s_add_nc_u64 s[20:21], s[20:21], s[14:15]
	s_add_nc_u64 s[36:37], s[36:37], s[18:19]
	v_add_nc_u64_e32 v[2:3], s[20:21], v[0:1]
	v_add_nc_u64_e32 v[4:5], s[36:37], v[0:1]
	s_add_nc_u64 s[20:21], s[38:39], s[8:9]
	s_branch .LBB40_7
.LBB40_6:                               ;   in Loop: Header=BB40_7 Depth=2
	s_add_co_i32 s35, s35, s34
	s_delay_alu instid0(SALU_CYCLE_1)
	s_cmp_gt_i32 s35, s29
	s_cbranch_scc1 .LBB40_3
.LBB40_7:                               ;   Parent Loop BB40_4 Depth=1
                                        ; =>  This Loop Header: Depth=2
                                        ;       Child Loop BB40_10 Depth 3
	s_and_not1_b32 vcc_lo, exec_lo, s33
	s_cbranch_vccnz .LBB40_6
; %bb.8:                                ;   in Loop: Header=BB40_7 Depth=2
	v_lshl_add_u32 v6, s35, 5, v19
	s_mov_b32 s37, 0
	s_delay_alu instid0(VALU_DEP_1) | instskip(SKIP_1) | instid1(VALU_DEP_2)
	v_ashrrev_i32_e32 v7, 31, v6
	v_cmp_gt_i32_e32 vcc_lo, s22, v6
	v_mul_u64_e32 v[8:9], s[4:5], v[6:7]
	s_and_b32 s36, s1, vcc_lo
	s_delay_alu instid0(VALU_DEP_1)
	v_lshl_add_u64 v[8:9], v[8:9], 3, v[4:5]
	s_branch .LBB40_10
.LBB40_9:                               ;   in Loop: Header=BB40_10 Depth=3
	s_wait_xcnt 0x0
	s_or_b32 exec_lo, exec_lo, s38
	s_add_co_i32 s37, s37, 32
	s_wait_storecnt_dscnt 0x0
	s_cmp_ge_i32 s37, s22
	s_barrier_signal -1
	s_barrier_wait -1
	s_cbranch_scc1 .LBB40_6
.LBB40_10:                              ;   Parent Loop BB40_4 Depth=1
                                        ;     Parent Loop BB40_7 Depth=2
                                        ; =>    This Inner Loop Header: Depth=3
	v_add_nc_u32_e32 v14, s37, v19
	v_mov_b64_e32 v[10:11], 0
	v_mov_b64_e32 v[12:13], 0
	s_delay_alu instid0(VALU_DEP_3) | instskip(SKIP_1) | instid1(SALU_CYCLE_1)
	v_cmp_gt_i32_e32 vcc_lo, s22, v14
	s_and_b32 s39, s1, vcc_lo
	s_and_saveexec_b32 s38, s39
	s_cbranch_execz .LBB40_12
; %bb.11:                               ;   in Loop: Header=BB40_10 Depth=3
	v_ashrrev_i32_e32 v15, 31, v14
	s_delay_alu instid0(VALU_DEP_1) | instskip(NEXT) | instid1(VALU_DEP_1)
	v_mul_u64_e32 v[12:13], s[24:25], v[14:15]
	v_lshl_add_u64 v[12:13], v[12:13], 3, v[2:3]
	flat_load_b64 v[12:13], v[12:13]
.LBB40_12:                              ;   in Loop: Header=BB40_10 Depth=3
	s_wait_xcnt 0x0
	s_or_b32 exec_lo, exec_lo, s38
	v_add_nc_u32_e32 v7, s37, v18
	s_mov_b32 s38, exec_lo
	s_wait_loadcnt_dscnt 0x0
	ds_store_b64 v21, v[12:13]
	v_dual_cndmask_b32 v14, v6, v7, s0 :: v_dual_cndmask_b32 v15, v7, v6, s0
	s_delay_alu instid0(VALU_DEP_1) | instskip(SKIP_1) | instid1(VALU_DEP_1)
	v_cmp_gt_i32_e32 vcc_lo, v14, v15
	v_dual_cndmask_b32 v14, v7, v6, vcc_lo :: v_dual_cndmask_b32 v16, v6, v7, vcc_lo
	v_max_i32_e32 v7, v14, v16
	s_delay_alu instid0(VALU_DEP_1)
	v_cmpx_gt_i32_e64 s22, v7
	s_cbranch_execz .LBB40_14
; %bb.13:                               ;   in Loop: Header=BB40_10 Depth=3
	v_dual_ashrrev_i32 v17, 31, v16 :: v_dual_ashrrev_i32 v15, 31, v14
	s_delay_alu instid0(VALU_DEP_1) | instskip(NEXT) | instid1(VALU_DEP_1)
	v_mul_u64_e32 v[10:11], s[10:11], v[16:17]
	v_lshl_add_u64 v[10:11], v[10:11], 3, s[20:21]
	s_delay_alu instid0(VALU_DEP_1)
	v_lshl_add_u64 v[10:11], v[14:15], 3, v[10:11]
	flat_load_b64 v[10:11], v[10:11]
.LBB40_14:                              ;   in Loop: Header=BB40_10 Depth=3
	s_wait_xcnt 0x0
	s_or_b32 exec_lo, exec_lo, s38
	s_wait_loadcnt_dscnt 0x0
	ds_store_b64 v23, v[10:11]
	s_wait_dscnt 0x0
	s_barrier_signal -1
	s_barrier_wait -1
	s_and_saveexec_b32 s38, s36
	s_cbranch_execz .LBB40_9
; %bb.15:                               ;   in Loop: Header=BB40_10 Depth=3
	ds_load_2addr_b64 v[10:13], v22 offset1:32
	ds_load_b128 v[14:17], v20
	ds_load_b128 v[28:31], v20 offset:16
	s_wait_dscnt 0x1
	v_fma_f64 v[10:11], v[14:15], v[10:11], 0
	s_delay_alu instid0(VALU_DEP_1) | instskip(SKIP_3) | instid1(VALU_DEP_1)
	v_fmac_f64_e32 v[10:11], v[16:17], v[12:13]
	ds_load_2addr_b64 v[12:15], v22 offset0:64 offset1:96
	s_wait_dscnt 0x0
	v_fmac_f64_e32 v[10:11], v[28:29], v[12:13]
	v_fmac_f64_e32 v[10:11], v[30:31], v[14:15]
	ds_load_2addr_b64 v[12:15], v22 offset0:128 offset1:160
	ds_load_b128 v[28:31], v20 offset:32
	ds_load_b128 v[32:35], v20 offset:48
	s_wait_dscnt 0x1
	v_fmac_f64_e32 v[10:11], v[28:29], v[12:13]
	s_delay_alu instid0(VALU_DEP_1) | instskip(SKIP_3) | instid1(VALU_DEP_1)
	v_fmac_f64_e32 v[10:11], v[30:31], v[14:15]
	ds_load_2addr_b64 v[12:15], v22 offset0:192 offset1:224
	s_wait_dscnt 0x0
	v_fmac_f64_e32 v[10:11], v[32:33], v[12:13]
	v_fmac_f64_e32 v[10:11], v[34:35], v[14:15]
	ds_load_2addr_b64 v[12:15], v24 offset1:32
	ds_load_b128 v[28:31], v20 offset:64
	ds_load_b128 v[32:35], v20 offset:80
	s_wait_dscnt 0x1
	v_fmac_f64_e32 v[10:11], v[28:29], v[12:13]
	s_delay_alu instid0(VALU_DEP_1) | instskip(SKIP_3) | instid1(VALU_DEP_1)
	v_fmac_f64_e32 v[10:11], v[30:31], v[14:15]
	ds_load_2addr_b64 v[12:15], v24 offset0:64 offset1:96
	s_wait_dscnt 0x0
	v_fmac_f64_e32 v[10:11], v[32:33], v[12:13]
	v_fmac_f64_e32 v[10:11], v[34:35], v[14:15]
	ds_load_2addr_b64 v[12:15], v24 offset0:128 offset1:160
	ds_load_b128 v[28:31], v20 offset:96
	ds_load_b128 v[32:35], v20 offset:112
	s_wait_dscnt 0x1
	v_fmac_f64_e32 v[10:11], v[28:29], v[12:13]
	s_delay_alu instid0(VALU_DEP_1) | instskip(SKIP_3) | instid1(VALU_DEP_1)
	v_fmac_f64_e32 v[10:11], v[30:31], v[14:15]
	ds_load_2addr_b64 v[12:15], v24 offset0:192 offset1:224
	s_wait_dscnt 0x0
	v_fmac_f64_e32 v[10:11], v[32:33], v[12:13]
	v_fmac_f64_e32 v[10:11], v[34:35], v[14:15]
	ds_load_2addr_b64 v[12:15], v25 offset1:32
	ds_load_b128 v[28:31], v20 offset:128
	ds_load_b128 v[32:35], v20 offset:144
	s_wait_dscnt 0x1
	v_fmac_f64_e32 v[10:11], v[28:29], v[12:13]
	s_delay_alu instid0(VALU_DEP_1) | instskip(SKIP_3) | instid1(VALU_DEP_1)
	v_fmac_f64_e32 v[10:11], v[30:31], v[14:15]
	ds_load_2addr_b64 v[12:15], v25 offset0:64 offset1:96
	s_wait_dscnt 0x0
	v_fmac_f64_e32 v[10:11], v[32:33], v[12:13]
	v_fmac_f64_e32 v[10:11], v[34:35], v[14:15]
	ds_load_2addr_b64 v[12:15], v25 offset0:128 offset1:160
	ds_load_b128 v[28:31], v20 offset:160
	ds_load_b128 v[32:35], v20 offset:176
	flat_load_b64 v[16:17], v[8:9]
	s_wait_dscnt 0x2
	v_fmac_f64_e32 v[10:11], v[28:29], v[12:13]
	s_delay_alu instid0(VALU_DEP_1) | instskip(SKIP_3) | instid1(VALU_DEP_1)
	v_fmac_f64_e32 v[10:11], v[30:31], v[14:15]
	ds_load_2addr_b64 v[12:15], v25 offset0:192 offset1:224
	s_wait_dscnt 0x0
	v_fmac_f64_e32 v[10:11], v[32:33], v[12:13]
	v_fmac_f64_e32 v[10:11], v[34:35], v[14:15]
	ds_load_2addr_b64 v[12:15], v26 offset1:32
	ds_load_b128 v[28:31], v20 offset:192
	ds_load_b128 v[32:35], v20 offset:208
	s_wait_dscnt 0x1
	v_fmac_f64_e32 v[10:11], v[28:29], v[12:13]
	s_delay_alu instid0(VALU_DEP_1) | instskip(SKIP_3) | instid1(VALU_DEP_1)
	v_fmac_f64_e32 v[10:11], v[30:31], v[14:15]
	ds_load_2addr_b64 v[12:15], v26 offset0:64 offset1:96
	s_wait_dscnt 0x0
	v_fmac_f64_e32 v[10:11], v[32:33], v[12:13]
	v_fmac_f64_e32 v[10:11], v[34:35], v[14:15]
	ds_load_2addr_b64 v[12:15], v26 offset0:128 offset1:160
	ds_load_b128 v[28:31], v20 offset:224
	ds_load_b128 v[32:35], v20 offset:240
	s_wait_dscnt 0x1
	v_fmac_f64_e32 v[10:11], v[28:29], v[12:13]
	s_delay_alu instid0(VALU_DEP_1) | instskip(SKIP_3) | instid1(VALU_DEP_1)
	v_fmac_f64_e32 v[10:11], v[30:31], v[14:15]
	ds_load_2addr_b64 v[12:15], v26 offset0:192 offset1:224
	s_wait_dscnt 0x0
	v_fmac_f64_e32 v[10:11], v[32:33], v[12:13]
	v_fmac_f64_e32 v[10:11], v[34:35], v[14:15]
	s_wait_loadcnt 0x0
	s_delay_alu instid0(VALU_DEP_1)
	v_fmac_f64_e32 v[16:17], s[2:3], v[10:11]
	flat_store_b64 v[8:9], v[16:17]
	s_branch .LBB40_9
.LBB40_16:
	s_endpgm
	.section	.rodata,"a",@progbits
	.p2align	6, 0x0
	.amdhsa_kernel _ZL24rocblas_symm_hemm_kernelILb0ELb1ELi32EPKdPKS1_PKPdEvbiiT2_T3_lllS8_lllT4_llli
		.amdhsa_group_segment_fixed_size 16384
		.amdhsa_private_segment_fixed_size 0
		.amdhsa_kernarg_size 384
		.amdhsa_user_sgpr_count 2
		.amdhsa_user_sgpr_dispatch_ptr 0
		.amdhsa_user_sgpr_queue_ptr 0
		.amdhsa_user_sgpr_kernarg_segment_ptr 1
		.amdhsa_user_sgpr_dispatch_id 0
		.amdhsa_user_sgpr_kernarg_preload_length 0
		.amdhsa_user_sgpr_kernarg_preload_offset 0
		.amdhsa_user_sgpr_private_segment_size 0
		.amdhsa_wavefront_size32 1
		.amdhsa_uses_dynamic_stack 0
		.amdhsa_enable_private_segment 0
		.amdhsa_system_sgpr_workgroup_id_x 1
		.amdhsa_system_sgpr_workgroup_id_y 1
		.amdhsa_system_sgpr_workgroup_id_z 1
		.amdhsa_system_sgpr_workgroup_info 0
		.amdhsa_system_vgpr_workitem_id 1
		.amdhsa_next_free_vgpr 36
		.amdhsa_next_free_sgpr 40
		.amdhsa_named_barrier_count 0
		.amdhsa_reserve_vcc 1
		.amdhsa_float_round_mode_32 0
		.amdhsa_float_round_mode_16_64 0
		.amdhsa_float_denorm_mode_32 3
		.amdhsa_float_denorm_mode_16_64 3
		.amdhsa_fp16_overflow 0
		.amdhsa_memory_ordered 1
		.amdhsa_forward_progress 1
		.amdhsa_inst_pref_size 11
		.amdhsa_round_robin_scheduling 0
		.amdhsa_exception_fp_ieee_invalid_op 0
		.amdhsa_exception_fp_denorm_src 0
		.amdhsa_exception_fp_ieee_div_zero 0
		.amdhsa_exception_fp_ieee_overflow 0
		.amdhsa_exception_fp_ieee_underflow 0
		.amdhsa_exception_fp_ieee_inexact 0
		.amdhsa_exception_int_div_zero 0
	.end_amdhsa_kernel
	.section	.text._ZL24rocblas_symm_hemm_kernelILb0ELb1ELi32EPKdPKS1_PKPdEvbiiT2_T3_lllS8_lllT4_llli,"axG",@progbits,_ZL24rocblas_symm_hemm_kernelILb0ELb1ELi32EPKdPKS1_PKPdEvbiiT2_T3_lllS8_lllT4_llli,comdat
.Lfunc_end40:
	.size	_ZL24rocblas_symm_hemm_kernelILb0ELb1ELi32EPKdPKS1_PKPdEvbiiT2_T3_lllS8_lllT4_llli, .Lfunc_end40-_ZL24rocblas_symm_hemm_kernelILb0ELb1ELi32EPKdPKS1_PKPdEvbiiT2_T3_lllS8_lllT4_llli
                                        ; -- End function
	.set _ZL24rocblas_symm_hemm_kernelILb0ELb1ELi32EPKdPKS1_PKPdEvbiiT2_T3_lllS8_lllT4_llli.num_vgpr, 36
	.set _ZL24rocblas_symm_hemm_kernelILb0ELb1ELi32EPKdPKS1_PKPdEvbiiT2_T3_lllS8_lllT4_llli.num_agpr, 0
	.set _ZL24rocblas_symm_hemm_kernelILb0ELb1ELi32EPKdPKS1_PKPdEvbiiT2_T3_lllS8_lllT4_llli.numbered_sgpr, 40
	.set _ZL24rocblas_symm_hemm_kernelILb0ELb1ELi32EPKdPKS1_PKPdEvbiiT2_T3_lllS8_lllT4_llli.num_named_barrier, 0
	.set _ZL24rocblas_symm_hemm_kernelILb0ELb1ELi32EPKdPKS1_PKPdEvbiiT2_T3_lllS8_lllT4_llli.private_seg_size, 0
	.set _ZL24rocblas_symm_hemm_kernelILb0ELb1ELi32EPKdPKS1_PKPdEvbiiT2_T3_lllS8_lllT4_llli.uses_vcc, 1
	.set _ZL24rocblas_symm_hemm_kernelILb0ELb1ELi32EPKdPKS1_PKPdEvbiiT2_T3_lllS8_lllT4_llli.uses_flat_scratch, 0
	.set _ZL24rocblas_symm_hemm_kernelILb0ELb1ELi32EPKdPKS1_PKPdEvbiiT2_T3_lllS8_lllT4_llli.has_dyn_sized_stack, 0
	.set _ZL24rocblas_symm_hemm_kernelILb0ELb1ELi32EPKdPKS1_PKPdEvbiiT2_T3_lllS8_lllT4_llli.has_recursion, 0
	.set _ZL24rocblas_symm_hemm_kernelILb0ELb1ELi32EPKdPKS1_PKPdEvbiiT2_T3_lllS8_lllT4_llli.has_indirect_call, 0
	.section	.AMDGPU.csdata,"",@progbits
; Kernel info:
; codeLenInByte = 1352
; TotalNumSgprs: 42
; NumVgprs: 36
; ScratchSize: 0
; MemoryBound: 0
; FloatMode: 240
; IeeeMode: 1
; LDSByteSize: 16384 bytes/workgroup (compile time only)
; SGPRBlocks: 0
; VGPRBlocks: 2
; NumSGPRsForWavesPerEU: 42
; NumVGPRsForWavesPerEU: 36
; NamedBarCnt: 0
; Occupancy: 16
; WaveLimiterHint : 1
; COMPUTE_PGM_RSRC2:SCRATCH_EN: 0
; COMPUTE_PGM_RSRC2:USER_SGPR: 2
; COMPUTE_PGM_RSRC2:TRAP_HANDLER: 0
; COMPUTE_PGM_RSRC2:TGID_X_EN: 1
; COMPUTE_PGM_RSRC2:TGID_Y_EN: 1
; COMPUTE_PGM_RSRC2:TGID_Z_EN: 1
; COMPUTE_PGM_RSRC2:TIDIG_COMP_CNT: 1
	.section	.text._ZL25rocblas_symm_scale_kernelILi128ELi8EdPKPdEviiT1_T2_llli,"axG",@progbits,_ZL25rocblas_symm_scale_kernelILi128ELi8EdPKPdEviiT1_T2_llli,comdat
	.globl	_ZL25rocblas_symm_scale_kernelILi128ELi8EdPKPdEviiT1_T2_llli ; -- Begin function _ZL25rocblas_symm_scale_kernelILi128ELi8EdPKPdEviiT1_T2_llli
	.p2align	8
	.type	_ZL25rocblas_symm_scale_kernelILi128ELi8EdPKPdEviiT1_T2_llli,@function
_ZL25rocblas_symm_scale_kernelILi128ELi8EdPKPdEviiT1_T2_llli: ; @_ZL25rocblas_symm_scale_kernelILi128ELi8EdPKPdEviiT1_T2_llli
; %bb.0:
	s_load_b256 s[4:11], s[0:1], 0x8
	s_wait_kmcnt 0x0
	v_cmp_eq_f64_e64 s2, s[4:5], 1.0
	s_and_b32 vcc_lo, exec_lo, s2
	s_cbranch_vccnz .LBB41_10
; %bb.1:
	s_load_b32 s14, s[0:1], 0x30
	s_bfe_u32 s2, ttmp6, 0x40014
	s_lshr_b32 s3, ttmp7, 16
	s_add_co_i32 s2, s2, 1
	s_bfe_u32 s13, ttmp6, 0x40008
	s_mul_i32 s12, s3, s2
	s_getreg_b32 s2, hwreg(HW_REG_IB_STS2, 6, 4)
	s_add_co_i32 s13, s13, s12
	s_cmp_eq_u32 s2, 0
	s_cselect_b32 s15, s3, s13
	s_mov_b32 s3, 0
	s_wait_kmcnt 0x0
	s_cmp_ge_u32 s15, s14
	s_cbranch_scc1 .LBB41_10
; %bb.2:
	s_bfe_u32 s12, ttmp6, 0x40010
	s_bfe_u32 s16, ttmp6, 0x4000c
	s_and_b32 s13, ttmp7, 0xffff
	s_add_co_i32 s12, s12, 1
	s_add_co_i32 s16, s16, 1
	s_mul_i32 s12, s13, s12
	s_bfe_u32 s17, ttmp6, 0x40004
	s_and_b32 s18, ttmp6, 15
	s_mul_i32 s16, ttmp9, s16
	s_add_co_i32 s17, s17, s12
	s_add_co_i32 s18, s18, s16
	v_bfe_u32 v1, v0, 10, 10
	s_cmp_eq_u32 s2, 0
	v_mov_b32_e32 v3, 0
	s_cselect_b32 s2, s13, s17
	s_load_b64 s[12:13], s[0:1], 0x0
	v_lshl_add_u32 v2, s2, 3, v1
	s_cselect_b32 s2, ttmp9, s18
	s_lshl_b64 s[16:17], s[8:9], 3
	v_and_b32_e32 v0, 0x3ff, v0
	v_mov_b32_e32 v1, v3
	v_mul_u64_e32 v[4:5], s[10:11], v[2:3]
	s_wait_xcnt 0x0
	s_add_nc_u64 s[0:1], s[0:1], 56
	s_lshl_b64 s[10:11], s[10:11], 3
	v_lshl_add_u32 v0, s2, 7, v0
	s_wait_kmcnt 0x0
	s_ashr_i32 s9, s13, 31
	s_mov_b32 s8, s13
	s_delay_alu instid0(VALU_DEP_1) | instskip(SKIP_1) | instid1(VALU_DEP_4)
	v_cmp_gt_u32_e64 s2, s12, v0
	v_cmp_gt_i64_e32 vcc_lo, s[8:9], v[2:3]
	v_lshl_add_u64 v[4:5], v[4:5], 3, s[16:17]
	v_cmp_neq_f64_e64 s16, s[4:5], 0
	s_and_b32 s17, s2, vcc_lo
	v_lshl_add_u64 v[0:1], v[0:1], 3, v[4:5]
	s_branch .LBB41_4
.LBB41_3:                               ;   in Loop: Header=BB41_4 Depth=1
	s_or_b32 exec_lo, exec_lo, s18
	s_add_co_i32 s15, s15, 0x10000
	s_delay_alu instid0(SALU_CYCLE_1)
	s_cmp_lt_u32 s15, s14
	s_cbranch_scc0 .LBB41_10
.LBB41_4:                               ; =>This Loop Header: Depth=1
                                        ;     Child Loop BB41_8 Depth 2
	s_and_saveexec_b32 s18, s17
	s_cbranch_execz .LBB41_3
; %bb.5:                                ;   in Loop: Header=BB41_4 Depth=1
	s_load_b64 s[12:13], s[6:7], s15 offset:0x0 scale_offset
	s_load_b32 s2, s[0:1], 0x4
	v_mov_b64_e32 v[6:7], v[2:3]
	s_mov_b32 s19, 0
	s_wait_kmcnt 0x0
	v_add_nc_u64_e32 v[4:5], s[12:13], v[0:1]
	s_lshl_b32 s2, s2, 3
	s_delay_alu instid0(SALU_CYCLE_1)
	s_mul_u64 s[12:13], s[10:11], s[2:3]
	s_branch .LBB41_8
.LBB41_6:                               ;   in Loop: Header=BB41_8 Depth=2
	flat_load_b64 v[8:9], v[4:5]
	s_wait_loadcnt_dscnt 0x0
	v_mul_f64_e32 v[8:9], s[4:5], v[8:9]
.LBB41_7:                               ;   in Loop: Header=BB41_8 Depth=2
	v_add_nc_u64_e32 v[6:7], s[2:3], v[6:7]
	flat_store_b64 v[4:5], v[8:9]
	s_wait_xcnt 0x0
	v_add_nc_u64_e32 v[4:5], s[12:13], v[4:5]
	v_cmp_le_i64_e32 vcc_lo, s[8:9], v[6:7]
	s_or_b32 s19, vcc_lo, s19
	s_delay_alu instid0(SALU_CYCLE_1)
	s_and_not1_b32 exec_lo, exec_lo, s19
	s_cbranch_execz .LBB41_3
.LBB41_8:                               ;   Parent Loop BB41_4 Depth=1
                                        ; =>  This Inner Loop Header: Depth=2
	s_and_not1_b32 vcc_lo, exec_lo, s16
	s_cbranch_vccz .LBB41_6
; %bb.9:                                ;   in Loop: Header=BB41_8 Depth=2
	v_mov_b64_e32 v[8:9], 0
	s_branch .LBB41_7
.LBB41_10:
	s_endpgm
	.section	.rodata,"a",@progbits
	.p2align	6, 0x0
	.amdhsa_kernel _ZL25rocblas_symm_scale_kernelILi128ELi8EdPKPdEviiT1_T2_llli
		.amdhsa_group_segment_fixed_size 0
		.amdhsa_private_segment_fixed_size 0
		.amdhsa_kernarg_size 312
		.amdhsa_user_sgpr_count 2
		.amdhsa_user_sgpr_dispatch_ptr 0
		.amdhsa_user_sgpr_queue_ptr 0
		.amdhsa_user_sgpr_kernarg_segment_ptr 1
		.amdhsa_user_sgpr_dispatch_id 0
		.amdhsa_user_sgpr_kernarg_preload_length 0
		.amdhsa_user_sgpr_kernarg_preload_offset 0
		.amdhsa_user_sgpr_private_segment_size 0
		.amdhsa_wavefront_size32 1
		.amdhsa_uses_dynamic_stack 0
		.amdhsa_enable_private_segment 0
		.amdhsa_system_sgpr_workgroup_id_x 1
		.amdhsa_system_sgpr_workgroup_id_y 1
		.amdhsa_system_sgpr_workgroup_id_z 1
		.amdhsa_system_sgpr_workgroup_info 0
		.amdhsa_system_vgpr_workitem_id 1
		.amdhsa_next_free_vgpr 10
		.amdhsa_next_free_sgpr 20
		.amdhsa_named_barrier_count 0
		.amdhsa_reserve_vcc 1
		.amdhsa_float_round_mode_32 0
		.amdhsa_float_round_mode_16_64 0
		.amdhsa_float_denorm_mode_32 3
		.amdhsa_float_denorm_mode_16_64 3
		.amdhsa_fp16_overflow 0
		.amdhsa_memory_ordered 1
		.amdhsa_forward_progress 1
		.amdhsa_inst_pref_size 4
		.amdhsa_round_robin_scheduling 0
		.amdhsa_exception_fp_ieee_invalid_op 0
		.amdhsa_exception_fp_denorm_src 0
		.amdhsa_exception_fp_ieee_div_zero 0
		.amdhsa_exception_fp_ieee_overflow 0
		.amdhsa_exception_fp_ieee_underflow 0
		.amdhsa_exception_fp_ieee_inexact 0
		.amdhsa_exception_int_div_zero 0
	.end_amdhsa_kernel
	.section	.text._ZL25rocblas_symm_scale_kernelILi128ELi8EdPKPdEviiT1_T2_llli,"axG",@progbits,_ZL25rocblas_symm_scale_kernelILi128ELi8EdPKPdEviiT1_T2_llli,comdat
.Lfunc_end41:
	.size	_ZL25rocblas_symm_scale_kernelILi128ELi8EdPKPdEviiT1_T2_llli, .Lfunc_end41-_ZL25rocblas_symm_scale_kernelILi128ELi8EdPKPdEviiT1_T2_llli
                                        ; -- End function
	.set _ZL25rocblas_symm_scale_kernelILi128ELi8EdPKPdEviiT1_T2_llli.num_vgpr, 10
	.set _ZL25rocblas_symm_scale_kernelILi128ELi8EdPKPdEviiT1_T2_llli.num_agpr, 0
	.set _ZL25rocblas_symm_scale_kernelILi128ELi8EdPKPdEviiT1_T2_llli.numbered_sgpr, 20
	.set _ZL25rocblas_symm_scale_kernelILi128ELi8EdPKPdEviiT1_T2_llli.num_named_barrier, 0
	.set _ZL25rocblas_symm_scale_kernelILi128ELi8EdPKPdEviiT1_T2_llli.private_seg_size, 0
	.set _ZL25rocblas_symm_scale_kernelILi128ELi8EdPKPdEviiT1_T2_llli.uses_vcc, 1
	.set _ZL25rocblas_symm_scale_kernelILi128ELi8EdPKPdEviiT1_T2_llli.uses_flat_scratch, 0
	.set _ZL25rocblas_symm_scale_kernelILi128ELi8EdPKPdEviiT1_T2_llli.has_dyn_sized_stack, 0
	.set _ZL25rocblas_symm_scale_kernelILi128ELi8EdPKPdEviiT1_T2_llli.has_recursion, 0
	.set _ZL25rocblas_symm_scale_kernelILi128ELi8EdPKPdEviiT1_T2_llli.has_indirect_call, 0
	.section	.AMDGPU.csdata,"",@progbits
; Kernel info:
; codeLenInByte = 460
; TotalNumSgprs: 22
; NumVgprs: 10
; ScratchSize: 0
; MemoryBound: 1
; FloatMode: 240
; IeeeMode: 1
; LDSByteSize: 0 bytes/workgroup (compile time only)
; SGPRBlocks: 0
; VGPRBlocks: 0
; NumSGPRsForWavesPerEU: 22
; NumVGPRsForWavesPerEU: 10
; NamedBarCnt: 0
; Occupancy: 16
; WaveLimiterHint : 0
; COMPUTE_PGM_RSRC2:SCRATCH_EN: 0
; COMPUTE_PGM_RSRC2:USER_SGPR: 2
; COMPUTE_PGM_RSRC2:TRAP_HANDLER: 0
; COMPUTE_PGM_RSRC2:TGID_X_EN: 1
; COMPUTE_PGM_RSRC2:TGID_Y_EN: 1
; COMPUTE_PGM_RSRC2:TGID_Z_EN: 1
; COMPUTE_PGM_RSRC2:TIDIG_COMP_CNT: 1
	.section	.text._ZL24rocblas_symm_hemm_kernelILb0ELb0ELi32EdPKPKdPKPdEvbiiT2_T3_lllS8_lllT4_llli,"axG",@progbits,_ZL24rocblas_symm_hemm_kernelILb0ELb0ELi32EdPKPKdPKPdEvbiiT2_T3_lllS8_lllT4_llli,comdat
	.globl	_ZL24rocblas_symm_hemm_kernelILb0ELb0ELi32EdPKPKdPKPdEvbiiT2_T3_lllS8_lllT4_llli ; -- Begin function _ZL24rocblas_symm_hemm_kernelILb0ELb0ELi32EdPKPKdPKPdEvbiiT2_T3_lllS8_lllT4_llli
	.p2align	8
	.type	_ZL24rocblas_symm_hemm_kernelILb0ELb0ELi32EdPKPKdPKPdEvbiiT2_T3_lllS8_lllT4_llli,@function
_ZL24rocblas_symm_hemm_kernelILb0ELb0ELi32EdPKPKdPKPdEvbiiT2_T3_lllS8_lllT4_llli: ; @_ZL24rocblas_symm_hemm_kernelILb0ELb0ELi32EdPKPKdPKPdEvbiiT2_T3_lllS8_lllT4_llli
; %bb.0:
	s_load_b256 s[4:11], s[0:1], 0x10
	s_wait_kmcnt 0x0
	v_cmp_eq_f64_e64 s2, s[4:5], 0
	s_and_b32 vcc_lo, exec_lo, s2
	s_cbranch_vccnz .LBB42_16
; %bb.1:
	s_load_b32 s3, s[0:1], 0x78
	s_bfe_u32 s2, ttmp6, 0x40014
	s_lshr_b32 s12, ttmp7, 16
	s_add_co_i32 s2, s2, 1
	s_bfe_u32 s14, ttmp6, 0x40008
	s_mul_i32 s13, s12, s2
	s_getreg_b32 s2, hwreg(HW_REG_IB_STS2, 6, 4)
	s_add_co_i32 s14, s14, s13
	s_cmp_eq_u32 s2, 0
	s_cselect_b32 s23, s12, s14
	s_wait_kmcnt 0x0
	s_cmp_ge_u32 s23, s3
	s_cbranch_scc1 .LBB42_16
; %bb.2:
	s_clause 0x4
	s_load_b96 s[20:22], s[0:1], 0x0
	s_load_b128 s[12:15], s[0:1], 0x38
	s_load_b64 s[24:25], s[0:1], 0x68
	s_load_b64 s[26:27], s[0:1], 0x48
	s_load_b128 s[16:19], s[0:1], 0x58
	s_add_nc_u64 s[28:29], s[0:1], 0x80
	v_and_b32_e32 v16, 0x3ff, v0
	v_bfe_u32 v17, v0, 10, 10
	s_delay_alu instid0(VALU_DEP_1) | instskip(NEXT) | instid1(VALU_DEP_1)
	v_dual_lshlrev_b32 v18, 8, v16 :: v_dual_lshlrev_b32 v0, 3, v17
	v_or_b32_e32 v20, 0x2000, v0
	s_delay_alu instid0(VALU_DEP_1)
	v_dual_add_nc_u32 v19, v18, v0 :: v_dual_add_nc_u32 v21, v20, v18
	s_wait_kmcnt 0x0
	s_bitcmp1_b32 s20, 0
	v_add_nc_u32_e32 v22, 0x800, v20
	s_cselect_b32 s0, -1, 0
	s_add_co_i32 s1, s22, -1
	s_bfe_u32 s30, ttmp6, 0x4000c
	s_bfe_u32 s33, ttmp6, 0x40010
	s_ashr_i32 s35, s1, 31
	s_and_b32 s31, ttmp7, 0xffff
	s_add_co_i32 s30, s30, 1
	s_add_co_i32 s33, s33, 1
	s_lshr_b32 s35, s35, 27
	s_and_b32 s20, ttmp6, 15
	s_bfe_u32 s34, ttmp6, 0x40004
	s_mul_i32 s30, ttmp9, s30
	s_mul_i32 s33, s31, s33
	s_add_co_i32 s1, s1, s35
	s_add_co_i32 s30, s20, s30
	s_add_co_i32 s34, s34, s33
	s_ashr_i32 s20, s1, 5
	s_cmp_eq_u32 s2, 0
	v_add_nc_u32_e32 v23, 0x1000, v20
	s_cselect_b32 s1, ttmp9, s30
	s_cselect_b32 s33, s31, s34
	v_lshl_add_u32 v0, s1, 5, v16
	s_cmp_le_i32 s33, s20
	v_add_nc_u32_e32 v24, 0x1800, v20
	s_cselect_b32 s36, -1, 0
	s_cmp_gt_i32 s21, 0
	v_cmp_gt_i32_e64 s1, s21, v0
	v_ashrrev_i32_e32 v1, 31, v0
	s_cselect_b32 s37, -1, 0
	s_lshl_b64 s[8:9], s[8:9], 3
	s_lshl_b64 s[14:15], s[14:15], 3
	;; [unrolled: 1-line block ×3, first 2 shown]
	s_branch .LBB42_4
.LBB42_3:                               ;   in Loop: Header=BB42_4 Depth=1
	s_add_co_i32 s23, s23, 0x10000
	s_delay_alu instid0(SALU_CYCLE_1)
	s_cmp_lt_u32 s23, s3
	s_cbranch_scc0 .LBB42_16
.LBB42_4:                               ; =>This Loop Header: Depth=1
                                        ;     Child Loop BB42_7 Depth 2
                                        ;       Child Loop BB42_10 Depth 3
	s_and_not1_b32 vcc_lo, exec_lo, s36
	s_cbranch_vccnz .LBB42_3
; %bb.5:                                ;   in Loop: Header=BB42_4 Depth=1
	s_load_b64 s[30:31], s[16:17], s23 offset:0x0 scale_offset
	s_load_b64 s[34:35], s[6:7], s23 offset:0x0 scale_offset
	s_load_b64 s[40:41], s[12:13], s23 offset:0x0 scale_offset
	s_load_b32 s38, s[28:29], 0x4
	s_mov_b32 s39, s33
	s_wait_kmcnt 0x0
	s_add_nc_u64 s[30:31], s[30:31], s[18:19]
	s_delay_alu instid0(SALU_CYCLE_1)
	v_lshl_add_u64 v[2:3], v[0:1], 3, s[30:31]
	s_add_nc_u64 s[30:31], s[34:35], s[8:9]
	s_add_nc_u64 s[34:35], s[40:41], s[14:15]
	s_branch .LBB42_7
.LBB42_6:                               ;   in Loop: Header=BB42_7 Depth=2
	s_add_co_i32 s39, s39, s38
	s_delay_alu instid0(SALU_CYCLE_1)
	s_cmp_gt_i32 s39, s20
	s_cbranch_scc1 .LBB42_3
.LBB42_7:                               ;   Parent Loop BB42_4 Depth=1
                                        ; =>  This Loop Header: Depth=2
                                        ;       Child Loop BB42_10 Depth 3
	s_and_not1_b32 vcc_lo, exec_lo, s37
	s_cbranch_vccnz .LBB42_6
; %bb.8:                                ;   in Loop: Header=BB42_7 Depth=2
	v_lshl_add_u32 v4, s39, 5, v17
	s_mov_b32 s41, 0
	s_delay_alu instid0(VALU_DEP_1) | instskip(SKIP_1) | instid1(VALU_DEP_2)
	v_ashrrev_i32_e32 v5, 31, v4
	v_cmp_gt_i32_e32 vcc_lo, s22, v4
	v_mul_u64_e32 v[6:7], s[26:27], v[4:5]
	v_mul_u64_e32 v[8:9], s[24:25], v[4:5]
	s_and_b32 s40, s1, vcc_lo
	s_delay_alu instid0(VALU_DEP_2) | instskip(NEXT) | instid1(VALU_DEP_2)
	v_lshl_add_u64 v[4:5], v[6:7], 3, s[34:35]
	v_lshl_add_u64 v[6:7], v[8:9], 3, v[2:3]
	s_branch .LBB42_10
.LBB42_9:                               ;   in Loop: Header=BB42_10 Depth=3
	s_wait_xcnt 0x0
	s_or_b32 exec_lo, exec_lo, s2
	s_add_co_i32 s41, s41, 32
	s_wait_storecnt_dscnt 0x0
	s_cmp_ge_i32 s41, s21
	s_barrier_signal -1
	s_barrier_wait -1
	s_cbranch_scc1 .LBB42_6
.LBB42_10:                              ;   Parent Loop BB42_4 Depth=1
                                        ;     Parent Loop BB42_7 Depth=2
                                        ; =>    This Inner Loop Header: Depth=3
	v_add_nc_u32_e32 v8, s41, v17
	v_mov_b64_e32 v[12:13], 0
	s_mov_b32 s42, exec_lo
	s_delay_alu instid0(VALU_DEP_2) | instskip(SKIP_1) | instid1(VALU_DEP_1)
	v_cndmask_b32_e64 v9, v8, v0, s0
	v_cndmask_b32_e64 v10, v0, v8, s0
	v_cmp_gt_i32_e64 s2, v9, v10
	s_delay_alu instid0(VALU_DEP_1) | instskip(SKIP_2) | instid1(VALU_DEP_2)
	v_cndmask_b32_e64 v10, v0, v8, s2
	v_cndmask_b32_e64 v14, v8, v0, s2
	v_mov_b64_e32 v[8:9], 0
	v_max_i32_e32 v11, v10, v14
	s_delay_alu instid0(VALU_DEP_1)
	v_cmpx_gt_i32_e64 s21, v11
	s_cbranch_execz .LBB42_12
; %bb.11:                               ;   in Loop: Header=BB42_10 Depth=3
	v_ashrrev_i32_e32 v15, 31, v14
	v_ashrrev_i32_e32 v11, 31, v10
	s_delay_alu instid0(VALU_DEP_2) | instskip(NEXT) | instid1(VALU_DEP_1)
	v_mul_u64_e32 v[12:13], s[10:11], v[14:15]
	v_lshl_add_u64 v[12:13], v[12:13], 3, s[30:31]
	s_delay_alu instid0(VALU_DEP_1)
	v_lshl_add_u64 v[10:11], v[10:11], 3, v[12:13]
	flat_load_b64 v[12:13], v[10:11]
.LBB42_12:                              ;   in Loop: Header=BB42_10 Depth=3
	s_wait_xcnt 0x0
	s_or_b32 exec_lo, exec_lo, s42
	v_add_nc_u32_e32 v10, s41, v16
	s_wait_loadcnt_dscnt 0x0
	ds_store_b64 v19, v[12:13]
	v_cmp_gt_i32_e64 s2, s21, v10
	s_and_b32 s42, s2, vcc_lo
	s_delay_alu instid0(SALU_CYCLE_1)
	s_and_saveexec_b32 s2, s42
	s_cbranch_execz .LBB42_14
; %bb.13:                               ;   in Loop: Header=BB42_10 Depth=3
	v_ashrrev_i32_e32 v11, 31, v10
	s_delay_alu instid0(VALU_DEP_1)
	v_lshl_add_u64 v[8:9], v[10:11], 3, v[4:5]
	flat_load_b64 v[8:9], v[8:9]
.LBB42_14:                              ;   in Loop: Header=BB42_10 Depth=3
	s_wait_xcnt 0x0
	s_or_b32 exec_lo, exec_lo, s2
	s_wait_loadcnt_dscnt 0x0
	ds_store_b64 v21, v[8:9]
	s_wait_dscnt 0x0
	s_barrier_signal -1
	s_barrier_wait -1
	s_and_saveexec_b32 s2, s40
	s_cbranch_execz .LBB42_9
; %bb.15:                               ;   in Loop: Header=BB42_10 Depth=3
	ds_load_2addr_b64 v[8:11], v20 offset1:32
	ds_load_b128 v[12:15], v18
	ds_load_b128 v[26:29], v18 offset:16
	s_wait_dscnt 0x1
	v_fma_f64 v[8:9], v[12:13], v[8:9], 0
	s_delay_alu instid0(VALU_DEP_1) | instskip(SKIP_3) | instid1(VALU_DEP_1)
	v_fmac_f64_e32 v[8:9], v[14:15], v[10:11]
	ds_load_2addr_b64 v[10:13], v20 offset0:64 offset1:96
	s_wait_dscnt 0x0
	v_fmac_f64_e32 v[8:9], v[26:27], v[10:11]
	v_fmac_f64_e32 v[8:9], v[28:29], v[12:13]
	ds_load_2addr_b64 v[10:13], v20 offset0:128 offset1:160
	ds_load_b128 v[26:29], v18 offset:32
	ds_load_b128 v[30:33], v18 offset:48
	s_wait_dscnt 0x1
	v_fmac_f64_e32 v[8:9], v[26:27], v[10:11]
	s_delay_alu instid0(VALU_DEP_1) | instskip(SKIP_3) | instid1(VALU_DEP_1)
	v_fmac_f64_e32 v[8:9], v[28:29], v[12:13]
	ds_load_2addr_b64 v[10:13], v20 offset0:192 offset1:224
	s_wait_dscnt 0x0
	v_fmac_f64_e32 v[8:9], v[30:31], v[10:11]
	v_fmac_f64_e32 v[8:9], v[32:33], v[12:13]
	ds_load_2addr_b64 v[10:13], v22 offset1:32
	ds_load_b128 v[26:29], v18 offset:64
	ds_load_b128 v[30:33], v18 offset:80
	s_wait_dscnt 0x1
	v_fmac_f64_e32 v[8:9], v[26:27], v[10:11]
	s_delay_alu instid0(VALU_DEP_1) | instskip(SKIP_3) | instid1(VALU_DEP_1)
	v_fmac_f64_e32 v[8:9], v[28:29], v[12:13]
	ds_load_2addr_b64 v[10:13], v22 offset0:64 offset1:96
	s_wait_dscnt 0x0
	v_fmac_f64_e32 v[8:9], v[30:31], v[10:11]
	v_fmac_f64_e32 v[8:9], v[32:33], v[12:13]
	ds_load_2addr_b64 v[10:13], v22 offset0:128 offset1:160
	ds_load_b128 v[26:29], v18 offset:96
	ds_load_b128 v[30:33], v18 offset:112
	s_wait_dscnt 0x1
	v_fmac_f64_e32 v[8:9], v[26:27], v[10:11]
	s_delay_alu instid0(VALU_DEP_1) | instskip(SKIP_3) | instid1(VALU_DEP_1)
	v_fmac_f64_e32 v[8:9], v[28:29], v[12:13]
	ds_load_2addr_b64 v[10:13], v22 offset0:192 offset1:224
	s_wait_dscnt 0x0
	v_fmac_f64_e32 v[8:9], v[30:31], v[10:11]
	v_fmac_f64_e32 v[8:9], v[32:33], v[12:13]
	ds_load_2addr_b64 v[10:13], v23 offset1:32
	ds_load_b128 v[26:29], v18 offset:128
	ds_load_b128 v[30:33], v18 offset:144
	s_wait_dscnt 0x1
	v_fmac_f64_e32 v[8:9], v[26:27], v[10:11]
	s_delay_alu instid0(VALU_DEP_1) | instskip(SKIP_3) | instid1(VALU_DEP_1)
	v_fmac_f64_e32 v[8:9], v[28:29], v[12:13]
	ds_load_2addr_b64 v[10:13], v23 offset0:64 offset1:96
	s_wait_dscnt 0x0
	v_fmac_f64_e32 v[8:9], v[30:31], v[10:11]
	v_fmac_f64_e32 v[8:9], v[32:33], v[12:13]
	ds_load_2addr_b64 v[10:13], v23 offset0:128 offset1:160
	ds_load_b128 v[26:29], v18 offset:160
	ds_load_b128 v[30:33], v18 offset:176
	flat_load_b64 v[14:15], v[6:7]
	s_wait_dscnt 0x2
	v_fmac_f64_e32 v[8:9], v[26:27], v[10:11]
	s_delay_alu instid0(VALU_DEP_1) | instskip(SKIP_3) | instid1(VALU_DEP_1)
	v_fmac_f64_e32 v[8:9], v[28:29], v[12:13]
	ds_load_2addr_b64 v[10:13], v23 offset0:192 offset1:224
	s_wait_dscnt 0x0
	v_fmac_f64_e32 v[8:9], v[30:31], v[10:11]
	v_fmac_f64_e32 v[8:9], v[32:33], v[12:13]
	ds_load_2addr_b64 v[10:13], v24 offset1:32
	ds_load_b128 v[26:29], v18 offset:192
	ds_load_b128 v[30:33], v18 offset:208
	s_wait_dscnt 0x1
	v_fmac_f64_e32 v[8:9], v[26:27], v[10:11]
	s_delay_alu instid0(VALU_DEP_1) | instskip(SKIP_3) | instid1(VALU_DEP_1)
	v_fmac_f64_e32 v[8:9], v[28:29], v[12:13]
	ds_load_2addr_b64 v[10:13], v24 offset0:64 offset1:96
	s_wait_dscnt 0x0
	v_fmac_f64_e32 v[8:9], v[30:31], v[10:11]
	v_fmac_f64_e32 v[8:9], v[32:33], v[12:13]
	ds_load_2addr_b64 v[10:13], v24 offset0:128 offset1:160
	ds_load_b128 v[26:29], v18 offset:224
	ds_load_b128 v[30:33], v18 offset:240
	s_wait_dscnt 0x1
	v_fmac_f64_e32 v[8:9], v[26:27], v[10:11]
	s_delay_alu instid0(VALU_DEP_1) | instskip(SKIP_3) | instid1(VALU_DEP_1)
	v_fmac_f64_e32 v[8:9], v[28:29], v[12:13]
	ds_load_2addr_b64 v[10:13], v24 offset0:192 offset1:224
	s_wait_dscnt 0x0
	v_fmac_f64_e32 v[8:9], v[30:31], v[10:11]
	v_fmac_f64_e32 v[8:9], v[32:33], v[12:13]
	s_wait_loadcnt 0x0
	s_delay_alu instid0(VALU_DEP_1)
	v_fmac_f64_e32 v[14:15], s[4:5], v[8:9]
	flat_store_b64 v[6:7], v[14:15]
	s_branch .LBB42_9
.LBB42_16:
	s_endpgm
	.section	.rodata,"a",@progbits
	.p2align	6, 0x0
	.amdhsa_kernel _ZL24rocblas_symm_hemm_kernelILb0ELb0ELi32EdPKPKdPKPdEvbiiT2_T3_lllS8_lllT4_llli
		.amdhsa_group_segment_fixed_size 16384
		.amdhsa_private_segment_fixed_size 0
		.amdhsa_kernarg_size 384
		.amdhsa_user_sgpr_count 2
		.amdhsa_user_sgpr_dispatch_ptr 0
		.amdhsa_user_sgpr_queue_ptr 0
		.amdhsa_user_sgpr_kernarg_segment_ptr 1
		.amdhsa_user_sgpr_dispatch_id 0
		.amdhsa_user_sgpr_kernarg_preload_length 0
		.amdhsa_user_sgpr_kernarg_preload_offset 0
		.amdhsa_user_sgpr_private_segment_size 0
		.amdhsa_wavefront_size32 1
		.amdhsa_uses_dynamic_stack 0
		.amdhsa_enable_private_segment 0
		.amdhsa_system_sgpr_workgroup_id_x 1
		.amdhsa_system_sgpr_workgroup_id_y 1
		.amdhsa_system_sgpr_workgroup_id_z 1
		.amdhsa_system_sgpr_workgroup_info 0
		.amdhsa_system_vgpr_workitem_id 1
		.amdhsa_next_free_vgpr 34
		.amdhsa_next_free_sgpr 43
		.amdhsa_named_barrier_count 0
		.amdhsa_reserve_vcc 1
		.amdhsa_float_round_mode_32 0
		.amdhsa_float_round_mode_16_64 0
		.amdhsa_float_denorm_mode_32 3
		.amdhsa_float_denorm_mode_16_64 3
		.amdhsa_fp16_overflow 0
		.amdhsa_memory_ordered 1
		.amdhsa_forward_progress 1
		.amdhsa_inst_pref_size 11
		.amdhsa_round_robin_scheduling 0
		.amdhsa_exception_fp_ieee_invalid_op 0
		.amdhsa_exception_fp_denorm_src 0
		.amdhsa_exception_fp_ieee_div_zero 0
		.amdhsa_exception_fp_ieee_overflow 0
		.amdhsa_exception_fp_ieee_underflow 0
		.amdhsa_exception_fp_ieee_inexact 0
		.amdhsa_exception_int_div_zero 0
	.end_amdhsa_kernel
	.section	.text._ZL24rocblas_symm_hemm_kernelILb0ELb0ELi32EdPKPKdPKPdEvbiiT2_T3_lllS8_lllT4_llli,"axG",@progbits,_ZL24rocblas_symm_hemm_kernelILb0ELb0ELi32EdPKPKdPKPdEvbiiT2_T3_lllS8_lllT4_llli,comdat
.Lfunc_end42:
	.size	_ZL24rocblas_symm_hemm_kernelILb0ELb0ELi32EdPKPKdPKPdEvbiiT2_T3_lllS8_lllT4_llli, .Lfunc_end42-_ZL24rocblas_symm_hemm_kernelILb0ELb0ELi32EdPKPKdPKPdEvbiiT2_T3_lllS8_lllT4_llli
                                        ; -- End function
	.set _ZL24rocblas_symm_hemm_kernelILb0ELb0ELi32EdPKPKdPKPdEvbiiT2_T3_lllS8_lllT4_llli.num_vgpr, 34
	.set _ZL24rocblas_symm_hemm_kernelILb0ELb0ELi32EdPKPKdPKPdEvbiiT2_T3_lllS8_lllT4_llli.num_agpr, 0
	.set _ZL24rocblas_symm_hemm_kernelILb0ELb0ELi32EdPKPKdPKPdEvbiiT2_T3_lllS8_lllT4_llli.numbered_sgpr, 43
	.set _ZL24rocblas_symm_hemm_kernelILb0ELb0ELi32EdPKPKdPKPdEvbiiT2_T3_lllS8_lllT4_llli.num_named_barrier, 0
	.set _ZL24rocblas_symm_hemm_kernelILb0ELb0ELi32EdPKPKdPKPdEvbiiT2_T3_lllS8_lllT4_llli.private_seg_size, 0
	.set _ZL24rocblas_symm_hemm_kernelILb0ELb0ELi32EdPKPKdPKPdEvbiiT2_T3_lllS8_lllT4_llli.uses_vcc, 1
	.set _ZL24rocblas_symm_hemm_kernelILb0ELb0ELi32EdPKPKdPKPdEvbiiT2_T3_lllS8_lllT4_llli.uses_flat_scratch, 0
	.set _ZL24rocblas_symm_hemm_kernelILb0ELb0ELi32EdPKPKdPKPdEvbiiT2_T3_lllS8_lllT4_llli.has_dyn_sized_stack, 0
	.set _ZL24rocblas_symm_hemm_kernelILb0ELb0ELi32EdPKPKdPKPdEvbiiT2_T3_lllS8_lllT4_llli.has_recursion, 0
	.set _ZL24rocblas_symm_hemm_kernelILb0ELb0ELi32EdPKPKdPKPdEvbiiT2_T3_lllS8_lllT4_llli.has_indirect_call, 0
	.section	.AMDGPU.csdata,"",@progbits
; Kernel info:
; codeLenInByte = 1368
; TotalNumSgprs: 45
; NumVgprs: 34
; ScratchSize: 0
; MemoryBound: 0
; FloatMode: 240
; IeeeMode: 1
; LDSByteSize: 16384 bytes/workgroup (compile time only)
; SGPRBlocks: 0
; VGPRBlocks: 2
; NumSGPRsForWavesPerEU: 45
; NumVGPRsForWavesPerEU: 34
; NamedBarCnt: 0
; Occupancy: 16
; WaveLimiterHint : 1
; COMPUTE_PGM_RSRC2:SCRATCH_EN: 0
; COMPUTE_PGM_RSRC2:USER_SGPR: 2
; COMPUTE_PGM_RSRC2:TRAP_HANDLER: 0
; COMPUTE_PGM_RSRC2:TGID_X_EN: 1
; COMPUTE_PGM_RSRC2:TGID_Y_EN: 1
; COMPUTE_PGM_RSRC2:TGID_Z_EN: 1
; COMPUTE_PGM_RSRC2:TIDIG_COMP_CNT: 1
	.section	.text._ZL24rocblas_symm_hemm_kernelILb0ELb1ELi32EdPKPKdPKPdEvbiiT2_T3_lllS8_lllT4_llli,"axG",@progbits,_ZL24rocblas_symm_hemm_kernelILb0ELb1ELi32EdPKPKdPKPdEvbiiT2_T3_lllS8_lllT4_llli,comdat
	.globl	_ZL24rocblas_symm_hemm_kernelILb0ELb1ELi32EdPKPKdPKPdEvbiiT2_T3_lllS8_lllT4_llli ; -- Begin function _ZL24rocblas_symm_hemm_kernelILb0ELb1ELi32EdPKPKdPKPdEvbiiT2_T3_lllS8_lllT4_llli
	.p2align	8
	.type	_ZL24rocblas_symm_hemm_kernelILb0ELb1ELi32EdPKPKdPKPdEvbiiT2_T3_lllS8_lllT4_llli,@function
_ZL24rocblas_symm_hemm_kernelILb0ELb1ELi32EdPKPKdPKPdEvbiiT2_T3_lllS8_lllT4_llli: ; @_ZL24rocblas_symm_hemm_kernelILb0ELb1ELi32EdPKPKdPKPdEvbiiT2_T3_lllS8_lllT4_llli
; %bb.0:
	s_load_b256 s[4:11], s[0:1], 0x10
	s_wait_kmcnt 0x0
	v_cmp_eq_f64_e64 s2, s[4:5], 0
	s_and_b32 vcc_lo, exec_lo, s2
	s_cbranch_vccnz .LBB43_16
; %bb.1:
	s_load_b32 s23, s[0:1], 0x78
	s_bfe_u32 s2, ttmp6, 0x40014
	s_lshr_b32 s3, ttmp7, 16
	s_add_co_i32 s2, s2, 1
	s_bfe_u32 s12, ttmp6, 0x40008
	s_mul_i32 s2, s3, s2
	s_getreg_b32 s30, hwreg(HW_REG_IB_STS2, 6, 4)
	s_add_co_i32 s12, s12, s2
	s_cmp_eq_u32 s30, 0
	s_cselect_b32 s28, s3, s12
	s_wait_kmcnt 0x0
	s_cmp_ge_u32 s28, s23
	s_cbranch_scc1 .LBB43_16
; %bb.2:
	s_clause 0x4
	s_load_b96 s[20:22], s[0:1], 0x0
	s_load_b128 s[12:15], s[0:1], 0x38
	s_load_b64 s[2:3], s[0:1], 0x68
	s_load_b64 s[24:25], s[0:1], 0x48
	s_load_b128 s[16:19], s[0:1], 0x58
	s_add_nc_u64 s[26:27], s[0:1], 0x80
	v_and_b32_e32 v18, 0x3ff, v0
	v_bfe_u32 v19, v0, 10, 10
	s_delay_alu instid0(VALU_DEP_1) | instskip(NEXT) | instid1(VALU_DEP_1)
	v_dual_lshlrev_b32 v20, 8, v18 :: v_dual_lshlrev_b32 v0, 3, v19
	v_add_nc_u32_e32 v21, v20, v0
	v_or_b32_e32 v22, 0x2000, v0
	s_wait_kmcnt 0x0
	s_bitcmp1_b32 s20, 0
	s_delay_alu instid0(VALU_DEP_1)
	v_add_nc_u32_e32 v23, v22, v20
	s_cselect_b32 s0, -1, 0
	s_add_co_i32 s1, s22, -1
	s_bfe_u32 s29, ttmp6, 0x4000c
	s_bfe_u32 s33, ttmp6, 0x40010
	s_ashr_i32 s35, s1, 31
	s_and_b32 s31, ttmp7, 0xffff
	s_add_co_i32 s29, s29, 1
	s_add_co_i32 s33, s33, 1
	s_lshr_b32 s35, s35, 27
	s_and_b32 s20, ttmp6, 15
	s_bfe_u32 s34, ttmp6, 0x40004
	s_mul_i32 s29, ttmp9, s29
	s_mul_i32 s33, s31, s33
	s_add_co_i32 s1, s1, s35
	s_add_co_i32 s20, s20, s29
	;; [unrolled: 1-line block ×3, first 2 shown]
	s_ashr_i32 s29, s1, 5
	s_cmp_eq_u32 s30, 0
	v_add_nc_u32_e32 v24, 0x800, v22
	s_cselect_b32 s1, ttmp9, s20
	s_cselect_b32 s30, s31, s34
	v_lshl_add_u32 v0, s1, 5, v18
	s_cmp_le_i32 s30, s29
	v_add_nc_u32_e32 v25, 0x1000, v22
	v_add_nc_u32_e32 v26, 0x1800, v22
	s_cselect_b32 s31, -1, 0
	v_ashrrev_i32_e32 v1, 31, v0
	v_cmp_gt_i32_e64 s1, s21, v0
	s_cmp_gt_i32 s22, 0
	s_cselect_b32 s33, -1, 0
	v_lshlrev_b64_e32 v[0:1], 3, v[0:1]
	s_lshl_b64 s[8:9], s[8:9], 3
	s_lshl_b64 s[18:19], s[18:19], 3
	;; [unrolled: 1-line block ×3, first 2 shown]
	s_branch .LBB43_4
.LBB43_3:                               ;   in Loop: Header=BB43_4 Depth=1
	s_add_co_i32 s28, s28, 0x10000
	s_delay_alu instid0(SALU_CYCLE_1)
	s_cmp_lt_u32 s28, s23
	s_cbranch_scc0 .LBB43_16
.LBB43_4:                               ; =>This Loop Header: Depth=1
                                        ;     Child Loop BB43_7 Depth 2
                                        ;       Child Loop BB43_10 Depth 3
	s_and_not1_b32 vcc_lo, exec_lo, s31
	s_cbranch_vccnz .LBB43_3
; %bb.5:                                ;   in Loop: Header=BB43_4 Depth=1
	s_load_b64 s[20:21], s[12:13], s28 offset:0x0 scale_offset
	s_load_b64 s[36:37], s[16:17], s28 offset:0x0 scale_offset
	;; [unrolled: 1-line block ×3, first 2 shown]
	s_load_b32 s34, s[26:27], 0x4
	s_mov_b32 s35, s30
	s_wait_kmcnt 0x0
	s_add_nc_u64 s[20:21], s[20:21], s[14:15]
	s_add_nc_u64 s[36:37], s[36:37], s[18:19]
	v_add_nc_u64_e32 v[2:3], s[20:21], v[0:1]
	v_add_nc_u64_e32 v[4:5], s[36:37], v[0:1]
	s_add_nc_u64 s[20:21], s[38:39], s[8:9]
	s_branch .LBB43_7
.LBB43_6:                               ;   in Loop: Header=BB43_7 Depth=2
	s_add_co_i32 s35, s35, s34
	s_delay_alu instid0(SALU_CYCLE_1)
	s_cmp_gt_i32 s35, s29
	s_cbranch_scc1 .LBB43_3
.LBB43_7:                               ;   Parent Loop BB43_4 Depth=1
                                        ; =>  This Loop Header: Depth=2
                                        ;       Child Loop BB43_10 Depth 3
	s_and_not1_b32 vcc_lo, exec_lo, s33
	s_cbranch_vccnz .LBB43_6
; %bb.8:                                ;   in Loop: Header=BB43_7 Depth=2
	v_lshl_add_u32 v6, s35, 5, v19
	s_mov_b32 s37, 0
	s_delay_alu instid0(VALU_DEP_1) | instskip(SKIP_1) | instid1(VALU_DEP_2)
	v_ashrrev_i32_e32 v7, 31, v6
	v_cmp_gt_i32_e32 vcc_lo, s22, v6
	v_mul_u64_e32 v[8:9], s[2:3], v[6:7]
	s_and_b32 s36, s1, vcc_lo
	s_delay_alu instid0(VALU_DEP_1)
	v_lshl_add_u64 v[8:9], v[8:9], 3, v[4:5]
	s_branch .LBB43_10
.LBB43_9:                               ;   in Loop: Header=BB43_10 Depth=3
	s_wait_xcnt 0x0
	s_or_b32 exec_lo, exec_lo, s38
	s_add_co_i32 s37, s37, 32
	s_wait_storecnt_dscnt 0x0
	s_cmp_ge_i32 s37, s22
	s_barrier_signal -1
	s_barrier_wait -1
	s_cbranch_scc1 .LBB43_6
.LBB43_10:                              ;   Parent Loop BB43_4 Depth=1
                                        ;     Parent Loop BB43_7 Depth=2
                                        ; =>    This Inner Loop Header: Depth=3
	v_add_nc_u32_e32 v14, s37, v19
	v_mov_b64_e32 v[10:11], 0
	v_mov_b64_e32 v[12:13], 0
	s_delay_alu instid0(VALU_DEP_3) | instskip(SKIP_1) | instid1(SALU_CYCLE_1)
	v_cmp_gt_i32_e32 vcc_lo, s22, v14
	s_and_b32 s39, s1, vcc_lo
	s_and_saveexec_b32 s38, s39
	s_cbranch_execz .LBB43_12
; %bb.11:                               ;   in Loop: Header=BB43_10 Depth=3
	v_ashrrev_i32_e32 v15, 31, v14
	s_delay_alu instid0(VALU_DEP_1) | instskip(NEXT) | instid1(VALU_DEP_1)
	v_mul_u64_e32 v[12:13], s[24:25], v[14:15]
	v_lshl_add_u64 v[12:13], v[12:13], 3, v[2:3]
	flat_load_b64 v[12:13], v[12:13]
.LBB43_12:                              ;   in Loop: Header=BB43_10 Depth=3
	s_wait_xcnt 0x0
	s_or_b32 exec_lo, exec_lo, s38
	v_add_nc_u32_e32 v7, s37, v18
	s_mov_b32 s38, exec_lo
	s_wait_loadcnt_dscnt 0x0
	ds_store_b64 v21, v[12:13]
	v_dual_cndmask_b32 v14, v6, v7, s0 :: v_dual_cndmask_b32 v15, v7, v6, s0
	s_delay_alu instid0(VALU_DEP_1) | instskip(SKIP_1) | instid1(VALU_DEP_1)
	v_cmp_gt_i32_e32 vcc_lo, v14, v15
	v_dual_cndmask_b32 v14, v7, v6, vcc_lo :: v_dual_cndmask_b32 v16, v6, v7, vcc_lo
	v_max_i32_e32 v7, v14, v16
	s_delay_alu instid0(VALU_DEP_1)
	v_cmpx_gt_i32_e64 s22, v7
	s_cbranch_execz .LBB43_14
; %bb.13:                               ;   in Loop: Header=BB43_10 Depth=3
	v_dual_ashrrev_i32 v17, 31, v16 :: v_dual_ashrrev_i32 v15, 31, v14
	s_delay_alu instid0(VALU_DEP_1) | instskip(NEXT) | instid1(VALU_DEP_1)
	v_mul_u64_e32 v[10:11], s[10:11], v[16:17]
	v_lshl_add_u64 v[10:11], v[10:11], 3, s[20:21]
	s_delay_alu instid0(VALU_DEP_1)
	v_lshl_add_u64 v[10:11], v[14:15], 3, v[10:11]
	flat_load_b64 v[10:11], v[10:11]
.LBB43_14:                              ;   in Loop: Header=BB43_10 Depth=3
	s_wait_xcnt 0x0
	s_or_b32 exec_lo, exec_lo, s38
	s_wait_loadcnt_dscnt 0x0
	ds_store_b64 v23, v[10:11]
	s_wait_dscnt 0x0
	s_barrier_signal -1
	s_barrier_wait -1
	s_and_saveexec_b32 s38, s36
	s_cbranch_execz .LBB43_9
; %bb.15:                               ;   in Loop: Header=BB43_10 Depth=3
	ds_load_2addr_b64 v[10:13], v22 offset1:32
	ds_load_b128 v[14:17], v20
	ds_load_b128 v[28:31], v20 offset:16
	s_wait_dscnt 0x1
	v_fma_f64 v[10:11], v[14:15], v[10:11], 0
	s_delay_alu instid0(VALU_DEP_1) | instskip(SKIP_3) | instid1(VALU_DEP_1)
	v_fmac_f64_e32 v[10:11], v[16:17], v[12:13]
	ds_load_2addr_b64 v[12:15], v22 offset0:64 offset1:96
	s_wait_dscnt 0x0
	v_fmac_f64_e32 v[10:11], v[28:29], v[12:13]
	v_fmac_f64_e32 v[10:11], v[30:31], v[14:15]
	ds_load_2addr_b64 v[12:15], v22 offset0:128 offset1:160
	ds_load_b128 v[28:31], v20 offset:32
	ds_load_b128 v[32:35], v20 offset:48
	s_wait_dscnt 0x1
	v_fmac_f64_e32 v[10:11], v[28:29], v[12:13]
	s_delay_alu instid0(VALU_DEP_1) | instskip(SKIP_3) | instid1(VALU_DEP_1)
	v_fmac_f64_e32 v[10:11], v[30:31], v[14:15]
	ds_load_2addr_b64 v[12:15], v22 offset0:192 offset1:224
	s_wait_dscnt 0x0
	v_fmac_f64_e32 v[10:11], v[32:33], v[12:13]
	v_fmac_f64_e32 v[10:11], v[34:35], v[14:15]
	ds_load_2addr_b64 v[12:15], v24 offset1:32
	ds_load_b128 v[28:31], v20 offset:64
	ds_load_b128 v[32:35], v20 offset:80
	s_wait_dscnt 0x1
	v_fmac_f64_e32 v[10:11], v[28:29], v[12:13]
	s_delay_alu instid0(VALU_DEP_1) | instskip(SKIP_3) | instid1(VALU_DEP_1)
	v_fmac_f64_e32 v[10:11], v[30:31], v[14:15]
	ds_load_2addr_b64 v[12:15], v24 offset0:64 offset1:96
	s_wait_dscnt 0x0
	v_fmac_f64_e32 v[10:11], v[32:33], v[12:13]
	v_fmac_f64_e32 v[10:11], v[34:35], v[14:15]
	ds_load_2addr_b64 v[12:15], v24 offset0:128 offset1:160
	ds_load_b128 v[28:31], v20 offset:96
	ds_load_b128 v[32:35], v20 offset:112
	s_wait_dscnt 0x1
	v_fmac_f64_e32 v[10:11], v[28:29], v[12:13]
	s_delay_alu instid0(VALU_DEP_1) | instskip(SKIP_3) | instid1(VALU_DEP_1)
	v_fmac_f64_e32 v[10:11], v[30:31], v[14:15]
	ds_load_2addr_b64 v[12:15], v24 offset0:192 offset1:224
	s_wait_dscnt 0x0
	v_fmac_f64_e32 v[10:11], v[32:33], v[12:13]
	v_fmac_f64_e32 v[10:11], v[34:35], v[14:15]
	ds_load_2addr_b64 v[12:15], v25 offset1:32
	ds_load_b128 v[28:31], v20 offset:128
	ds_load_b128 v[32:35], v20 offset:144
	s_wait_dscnt 0x1
	v_fmac_f64_e32 v[10:11], v[28:29], v[12:13]
	s_delay_alu instid0(VALU_DEP_1) | instskip(SKIP_3) | instid1(VALU_DEP_1)
	v_fmac_f64_e32 v[10:11], v[30:31], v[14:15]
	ds_load_2addr_b64 v[12:15], v25 offset0:64 offset1:96
	s_wait_dscnt 0x0
	v_fmac_f64_e32 v[10:11], v[32:33], v[12:13]
	v_fmac_f64_e32 v[10:11], v[34:35], v[14:15]
	ds_load_2addr_b64 v[12:15], v25 offset0:128 offset1:160
	ds_load_b128 v[28:31], v20 offset:160
	ds_load_b128 v[32:35], v20 offset:176
	flat_load_b64 v[16:17], v[8:9]
	s_wait_dscnt 0x2
	v_fmac_f64_e32 v[10:11], v[28:29], v[12:13]
	s_delay_alu instid0(VALU_DEP_1) | instskip(SKIP_3) | instid1(VALU_DEP_1)
	v_fmac_f64_e32 v[10:11], v[30:31], v[14:15]
	ds_load_2addr_b64 v[12:15], v25 offset0:192 offset1:224
	s_wait_dscnt 0x0
	v_fmac_f64_e32 v[10:11], v[32:33], v[12:13]
	v_fmac_f64_e32 v[10:11], v[34:35], v[14:15]
	ds_load_2addr_b64 v[12:15], v26 offset1:32
	ds_load_b128 v[28:31], v20 offset:192
	ds_load_b128 v[32:35], v20 offset:208
	s_wait_dscnt 0x1
	v_fmac_f64_e32 v[10:11], v[28:29], v[12:13]
	s_delay_alu instid0(VALU_DEP_1) | instskip(SKIP_3) | instid1(VALU_DEP_1)
	v_fmac_f64_e32 v[10:11], v[30:31], v[14:15]
	ds_load_2addr_b64 v[12:15], v26 offset0:64 offset1:96
	s_wait_dscnt 0x0
	v_fmac_f64_e32 v[10:11], v[32:33], v[12:13]
	v_fmac_f64_e32 v[10:11], v[34:35], v[14:15]
	ds_load_2addr_b64 v[12:15], v26 offset0:128 offset1:160
	ds_load_b128 v[28:31], v20 offset:224
	ds_load_b128 v[32:35], v20 offset:240
	s_wait_dscnt 0x1
	v_fmac_f64_e32 v[10:11], v[28:29], v[12:13]
	s_delay_alu instid0(VALU_DEP_1) | instskip(SKIP_3) | instid1(VALU_DEP_1)
	v_fmac_f64_e32 v[10:11], v[30:31], v[14:15]
	ds_load_2addr_b64 v[12:15], v26 offset0:192 offset1:224
	s_wait_dscnt 0x0
	v_fmac_f64_e32 v[10:11], v[32:33], v[12:13]
	v_fmac_f64_e32 v[10:11], v[34:35], v[14:15]
	s_wait_loadcnt 0x0
	s_delay_alu instid0(VALU_DEP_1)
	v_fmac_f64_e32 v[16:17], s[4:5], v[10:11]
	flat_store_b64 v[8:9], v[16:17]
	s_branch .LBB43_9
.LBB43_16:
	s_endpgm
	.section	.rodata,"a",@progbits
	.p2align	6, 0x0
	.amdhsa_kernel _ZL24rocblas_symm_hemm_kernelILb0ELb1ELi32EdPKPKdPKPdEvbiiT2_T3_lllS8_lllT4_llli
		.amdhsa_group_segment_fixed_size 16384
		.amdhsa_private_segment_fixed_size 0
		.amdhsa_kernarg_size 384
		.amdhsa_user_sgpr_count 2
		.amdhsa_user_sgpr_dispatch_ptr 0
		.amdhsa_user_sgpr_queue_ptr 0
		.amdhsa_user_sgpr_kernarg_segment_ptr 1
		.amdhsa_user_sgpr_dispatch_id 0
		.amdhsa_user_sgpr_kernarg_preload_length 0
		.amdhsa_user_sgpr_kernarg_preload_offset 0
		.amdhsa_user_sgpr_private_segment_size 0
		.amdhsa_wavefront_size32 1
		.amdhsa_uses_dynamic_stack 0
		.amdhsa_enable_private_segment 0
		.amdhsa_system_sgpr_workgroup_id_x 1
		.amdhsa_system_sgpr_workgroup_id_y 1
		.amdhsa_system_sgpr_workgroup_id_z 1
		.amdhsa_system_sgpr_workgroup_info 0
		.amdhsa_system_vgpr_workitem_id 1
		.amdhsa_next_free_vgpr 36
		.amdhsa_next_free_sgpr 40
		.amdhsa_named_barrier_count 0
		.amdhsa_reserve_vcc 1
		.amdhsa_float_round_mode_32 0
		.amdhsa_float_round_mode_16_64 0
		.amdhsa_float_denorm_mode_32 3
		.amdhsa_float_denorm_mode_16_64 3
		.amdhsa_fp16_overflow 0
		.amdhsa_memory_ordered 1
		.amdhsa_forward_progress 1
		.amdhsa_inst_pref_size 11
		.amdhsa_round_robin_scheduling 0
		.amdhsa_exception_fp_ieee_invalid_op 0
		.amdhsa_exception_fp_denorm_src 0
		.amdhsa_exception_fp_ieee_div_zero 0
		.amdhsa_exception_fp_ieee_overflow 0
		.amdhsa_exception_fp_ieee_underflow 0
		.amdhsa_exception_fp_ieee_inexact 0
		.amdhsa_exception_int_div_zero 0
	.end_amdhsa_kernel
	.section	.text._ZL24rocblas_symm_hemm_kernelILb0ELb1ELi32EdPKPKdPKPdEvbiiT2_T3_lllS8_lllT4_llli,"axG",@progbits,_ZL24rocblas_symm_hemm_kernelILb0ELb1ELi32EdPKPKdPKPdEvbiiT2_T3_lllS8_lllT4_llli,comdat
.Lfunc_end43:
	.size	_ZL24rocblas_symm_hemm_kernelILb0ELb1ELi32EdPKPKdPKPdEvbiiT2_T3_lllS8_lllT4_llli, .Lfunc_end43-_ZL24rocblas_symm_hemm_kernelILb0ELb1ELi32EdPKPKdPKPdEvbiiT2_T3_lllS8_lllT4_llli
                                        ; -- End function
	.set _ZL24rocblas_symm_hemm_kernelILb0ELb1ELi32EdPKPKdPKPdEvbiiT2_T3_lllS8_lllT4_llli.num_vgpr, 36
	.set _ZL24rocblas_symm_hemm_kernelILb0ELb1ELi32EdPKPKdPKPdEvbiiT2_T3_lllS8_lllT4_llli.num_agpr, 0
	.set _ZL24rocblas_symm_hemm_kernelILb0ELb1ELi32EdPKPKdPKPdEvbiiT2_T3_lllS8_lllT4_llli.numbered_sgpr, 40
	.set _ZL24rocblas_symm_hemm_kernelILb0ELb1ELi32EdPKPKdPKPdEvbiiT2_T3_lllS8_lllT4_llli.num_named_barrier, 0
	.set _ZL24rocblas_symm_hemm_kernelILb0ELb1ELi32EdPKPKdPKPdEvbiiT2_T3_lllS8_lllT4_llli.private_seg_size, 0
	.set _ZL24rocblas_symm_hemm_kernelILb0ELb1ELi32EdPKPKdPKPdEvbiiT2_T3_lllS8_lllT4_llli.uses_vcc, 1
	.set _ZL24rocblas_symm_hemm_kernelILb0ELb1ELi32EdPKPKdPKPdEvbiiT2_T3_lllS8_lllT4_llli.uses_flat_scratch, 0
	.set _ZL24rocblas_symm_hemm_kernelILb0ELb1ELi32EdPKPKdPKPdEvbiiT2_T3_lllS8_lllT4_llli.has_dyn_sized_stack, 0
	.set _ZL24rocblas_symm_hemm_kernelILb0ELb1ELi32EdPKPKdPKPdEvbiiT2_T3_lllS8_lllT4_llli.has_recursion, 0
	.set _ZL24rocblas_symm_hemm_kernelILb0ELb1ELi32EdPKPKdPKPdEvbiiT2_T3_lllS8_lllT4_llli.has_indirect_call, 0
	.section	.AMDGPU.csdata,"",@progbits
; Kernel info:
; codeLenInByte = 1340
; TotalNumSgprs: 42
; NumVgprs: 36
; ScratchSize: 0
; MemoryBound: 0
; FloatMode: 240
; IeeeMode: 1
; LDSByteSize: 16384 bytes/workgroup (compile time only)
; SGPRBlocks: 0
; VGPRBlocks: 2
; NumSGPRsForWavesPerEU: 42
; NumVGPRsForWavesPerEU: 36
; NamedBarCnt: 0
; Occupancy: 16
; WaveLimiterHint : 1
; COMPUTE_PGM_RSRC2:SCRATCH_EN: 0
; COMPUTE_PGM_RSRC2:USER_SGPR: 2
; COMPUTE_PGM_RSRC2:TRAP_HANDLER: 0
; COMPUTE_PGM_RSRC2:TGID_X_EN: 1
; COMPUTE_PGM_RSRC2:TGID_Y_EN: 1
; COMPUTE_PGM_RSRC2:TGID_Z_EN: 1
; COMPUTE_PGM_RSRC2:TIDIG_COMP_CNT: 1
	.section	.text._ZL25rocblas_symm_scale_kernelILi128ELi8EPK19rocblas_complex_numIfEPKPS1_EviiT1_T2_llli,"axG",@progbits,_ZL25rocblas_symm_scale_kernelILi128ELi8EPK19rocblas_complex_numIfEPKPS1_EviiT1_T2_llli,comdat
	.globl	_ZL25rocblas_symm_scale_kernelILi128ELi8EPK19rocblas_complex_numIfEPKPS1_EviiT1_T2_llli ; -- Begin function _ZL25rocblas_symm_scale_kernelILi128ELi8EPK19rocblas_complex_numIfEPKPS1_EviiT1_T2_llli
	.p2align	8
	.type	_ZL25rocblas_symm_scale_kernelILi128ELi8EPK19rocblas_complex_numIfEPKPS1_EviiT1_T2_llli,@function
_ZL25rocblas_symm_scale_kernelILi128ELi8EPK19rocblas_complex_numIfEPKPS1_EviiT1_T2_llli: ; @_ZL25rocblas_symm_scale_kernelILi128ELi8EPK19rocblas_complex_numIfEPKPS1_EviiT1_T2_llli
; %bb.0:
	s_load_b256 s[4:11], s[0:1], 0x8
	s_wait_kmcnt 0x0
	s_load_b64 s[12:13], s[4:5], 0x0
	s_wait_kmcnt 0x0
	s_cmp_eq_f32 s13, 0
	s_cselect_b32 s2, -1, 0
	s_cmp_eq_f32 s12, 1.0
	s_cselect_b32 s3, -1, 0
	s_delay_alu instid0(SALU_CYCLE_1) | instskip(NEXT) | instid1(SALU_CYCLE_1)
	s_and_b32 s2, s3, s2
	s_and_b32 vcc_lo, exec_lo, s2
	s_cbranch_vccnz .LBB44_9
; %bb.1:
	s_load_b32 s16, s[0:1], 0x30
	s_bfe_u32 s2, ttmp6, 0x40014
	s_lshr_b32 s3, ttmp7, 16
	s_add_co_i32 s2, s2, 1
	s_bfe_u32 s5, ttmp6, 0x40008
	s_mul_i32 s4, s3, s2
	s_getreg_b32 s2, hwreg(HW_REG_IB_STS2, 6, 4)
	s_add_co_i32 s5, s5, s4
	s_cmp_eq_u32 s2, 0
	s_cselect_b32 s17, s3, s5
	s_wait_kmcnt 0x0
	s_cmp_ge_u32 s17, s16
	s_cbranch_scc1 .LBB44_9
; %bb.2:
	s_bfe_u32 s3, ttmp6, 0x40010
	s_bfe_u32 s5, ttmp6, 0x4000c
	s_and_b32 s4, ttmp7, 0xffff
	s_add_co_i32 s3, s3, 1
	s_add_co_i32 s5, s5, 1
	s_mul_i32 s3, s4, s3
	s_bfe_u32 s14, ttmp6, 0x40004
	s_and_b32 s15, ttmp6, 15
	s_mul_i32 s5, ttmp9, s5
	s_add_co_i32 s14, s14, s3
	s_add_co_i32 s15, s15, s5
	v_bfe_u32 v1, v0, 10, 10
	s_cmp_eq_u32 s2, 0
	v_mov_b32_e32 v3, 0
	s_cselect_b32 s2, s4, s14
	v_and_b32_e32 v0, 0x3ff, v0
	v_lshl_add_u32 v2, s2, 3, v1
	s_load_b64 s[2:3], s[0:1], 0x0
	s_cselect_b32 s4, ttmp9, s15
	v_mov_b32_e32 v1, v3
	v_lshl_add_u32 v0, s4, 7, v0
	v_mul_u64_e32 v[4:5], s[10:11], v[2:3]
	s_wait_xcnt 0x0
	s_add_nc_u64 s[0:1], s[0:1], 56
	s_wait_kmcnt 0x0
	s_ashr_i32 s5, s3, 31
	s_mov_b32 s4, s3
	v_cmp_gt_u32_e64 s2, s2, v0
	v_cmp_gt_i64_e32 vcc_lo, s[4:5], v[2:3]
	s_or_b32 s3, s12, s13
	s_delay_alu instid0(SALU_CYCLE_1)
	s_bitset0_b32 s3, 31
	s_and_b32 s18, s2, vcc_lo
	s_cmp_lg_u32 s3, 0
	s_cselect_b32 s19, -1, 0
	s_lshl_b64 s[2:3], s[8:9], 3
	s_mov_b32 s8, s12
	v_lshl_add_u64 v[4:5], v[4:5], 3, s[2:3]
	s_mov_b32 s3, 0
	s_mov_b32 s9, s12
	;; [unrolled: 1-line block ×3, first 2 shown]
	s_lshl_b64 s[10:11], s[10:11], 3
	v_lshl_add_u64 v[0:1], v[0:1], 3, v[4:5]
	s_branch .LBB44_4
.LBB44_3:                               ;   in Loop: Header=BB44_4 Depth=1
	s_or_b32 exec_lo, exec_lo, s20
	s_add_co_i32 s17, s17, 0x10000
	s_delay_alu instid0(SALU_CYCLE_1)
	s_cmp_lt_u32 s17, s16
	s_cbranch_scc0 .LBB44_9
.LBB44_4:                               ; =>This Loop Header: Depth=1
                                        ;     Child Loop BB44_7 Depth 2
	s_and_saveexec_b32 s20, s18
	s_cbranch_execz .LBB44_3
; %bb.5:                                ;   in Loop: Header=BB44_4 Depth=1
	v_mov_b32_e32 v4, s17
	s_load_b32 s2, s[0:1], 0x4
	v_mov_b64_e32 v[6:7], v[2:3]
	s_mov_b32 s21, 0
	global_load_b64 v[4:5], v4, s[6:7] scale_offset
	s_wait_kmcnt 0x0
	s_lshl_b32 s2, s2, 3
	s_delay_alu instid0(SALU_CYCLE_1)
	s_mul_u64 s[14:15], s[10:11], s[2:3]
	s_wait_loadcnt 0x0
	s_wait_xcnt 0x0
	v_add_nc_u64_e32 v[4:5], v[4:5], v[0:1]
	s_branch .LBB44_7
.LBB44_6:                               ;   in Loop: Header=BB44_7 Depth=2
	v_add_nc_u64_e32 v[6:7], s[2:3], v[6:7]
	flat_store_b64 v[4:5], v[8:9]
	s_wait_xcnt 0x0
	v_add_nc_u64_e32 v[4:5], s[14:15], v[4:5]
	v_cmp_le_i64_e32 vcc_lo, s[4:5], v[6:7]
	s_or_b32 s21, vcc_lo, s21
	s_delay_alu instid0(SALU_CYCLE_1)
	s_and_not1_b32 exec_lo, exec_lo, s21
	s_cbranch_execz .LBB44_3
.LBB44_7:                               ;   Parent Loop BB44_4 Depth=1
                                        ; =>  This Inner Loop Header: Depth=2
	v_dual_mov_b32 v8, 0 :: v_dual_mov_b32 v9, 0
	s_and_not1_b32 vcc_lo, exec_lo, s19
	s_cbranch_vccnz .LBB44_6
; %bb.8:                                ;   in Loop: Header=BB44_7 Depth=2
	flat_load_b64 v[8:9], v[4:5]
	v_mov_b64_e32 v[10:11], s[12:13]
	v_mov_b64_e32 v[12:13], s[8:9]
	s_wait_loadcnt_dscnt 0x0
	s_delay_alu instid0(VALU_DEP_2) | instskip(NEXT) | instid1(VALU_DEP_1)
	v_pk_mul_f32 v[10:11], v[8:9], v[10:11] op_sel:[1,0] op_sel_hi:[0,1]
	v_pk_fma_f32 v[14:15], v[8:9], v[12:13], v[10:11]
	v_pk_fma_f32 v[8:9], v[8:9], v[12:13], v[10:11] neg_lo:[0,0,1] neg_hi:[0,0,1]
	s_delay_alu instid0(VALU_DEP_2)
	v_mov_b32_e32 v9, v15
	s_branch .LBB44_6
.LBB44_9:
	s_endpgm
	.section	.rodata,"a",@progbits
	.p2align	6, 0x0
	.amdhsa_kernel _ZL25rocblas_symm_scale_kernelILi128ELi8EPK19rocblas_complex_numIfEPKPS1_EviiT1_T2_llli
		.amdhsa_group_segment_fixed_size 0
		.amdhsa_private_segment_fixed_size 0
		.amdhsa_kernarg_size 312
		.amdhsa_user_sgpr_count 2
		.amdhsa_user_sgpr_dispatch_ptr 0
		.amdhsa_user_sgpr_queue_ptr 0
		.amdhsa_user_sgpr_kernarg_segment_ptr 1
		.amdhsa_user_sgpr_dispatch_id 0
		.amdhsa_user_sgpr_kernarg_preload_length 0
		.amdhsa_user_sgpr_kernarg_preload_offset 0
		.amdhsa_user_sgpr_private_segment_size 0
		.amdhsa_wavefront_size32 1
		.amdhsa_uses_dynamic_stack 0
		.amdhsa_enable_private_segment 0
		.amdhsa_system_sgpr_workgroup_id_x 1
		.amdhsa_system_sgpr_workgroup_id_y 1
		.amdhsa_system_sgpr_workgroup_id_z 1
		.amdhsa_system_sgpr_workgroup_info 0
		.amdhsa_system_vgpr_workitem_id 1
		.amdhsa_next_free_vgpr 16
		.amdhsa_next_free_sgpr 22
		.amdhsa_named_barrier_count 0
		.amdhsa_reserve_vcc 1
		.amdhsa_float_round_mode_32 0
		.amdhsa_float_round_mode_16_64 0
		.amdhsa_float_denorm_mode_32 3
		.amdhsa_float_denorm_mode_16_64 3
		.amdhsa_fp16_overflow 0
		.amdhsa_memory_ordered 1
		.amdhsa_forward_progress 1
		.amdhsa_inst_pref_size 5
		.amdhsa_round_robin_scheduling 0
		.amdhsa_exception_fp_ieee_invalid_op 0
		.amdhsa_exception_fp_denorm_src 0
		.amdhsa_exception_fp_ieee_div_zero 0
		.amdhsa_exception_fp_ieee_overflow 0
		.amdhsa_exception_fp_ieee_underflow 0
		.amdhsa_exception_fp_ieee_inexact 0
		.amdhsa_exception_int_div_zero 0
	.end_amdhsa_kernel
	.section	.text._ZL25rocblas_symm_scale_kernelILi128ELi8EPK19rocblas_complex_numIfEPKPS1_EviiT1_T2_llli,"axG",@progbits,_ZL25rocblas_symm_scale_kernelILi128ELi8EPK19rocblas_complex_numIfEPKPS1_EviiT1_T2_llli,comdat
.Lfunc_end44:
	.size	_ZL25rocblas_symm_scale_kernelILi128ELi8EPK19rocblas_complex_numIfEPKPS1_EviiT1_T2_llli, .Lfunc_end44-_ZL25rocblas_symm_scale_kernelILi128ELi8EPK19rocblas_complex_numIfEPKPS1_EviiT1_T2_llli
                                        ; -- End function
	.set _ZL25rocblas_symm_scale_kernelILi128ELi8EPK19rocblas_complex_numIfEPKPS1_EviiT1_T2_llli.num_vgpr, 16
	.set _ZL25rocblas_symm_scale_kernelILi128ELi8EPK19rocblas_complex_numIfEPKPS1_EviiT1_T2_llli.num_agpr, 0
	.set _ZL25rocblas_symm_scale_kernelILi128ELi8EPK19rocblas_complex_numIfEPKPS1_EviiT1_T2_llli.numbered_sgpr, 22
	.set _ZL25rocblas_symm_scale_kernelILi128ELi8EPK19rocblas_complex_numIfEPKPS1_EviiT1_T2_llli.num_named_barrier, 0
	.set _ZL25rocblas_symm_scale_kernelILi128ELi8EPK19rocblas_complex_numIfEPKPS1_EviiT1_T2_llli.private_seg_size, 0
	.set _ZL25rocblas_symm_scale_kernelILi128ELi8EPK19rocblas_complex_numIfEPKPS1_EviiT1_T2_llli.uses_vcc, 1
	.set _ZL25rocblas_symm_scale_kernelILi128ELi8EPK19rocblas_complex_numIfEPKPS1_EviiT1_T2_llli.uses_flat_scratch, 0
	.set _ZL25rocblas_symm_scale_kernelILi128ELi8EPK19rocblas_complex_numIfEPKPS1_EviiT1_T2_llli.has_dyn_sized_stack, 0
	.set _ZL25rocblas_symm_scale_kernelILi128ELi8EPK19rocblas_complex_numIfEPKPS1_EviiT1_T2_llli.has_recursion, 0
	.set _ZL25rocblas_symm_scale_kernelILi128ELi8EPK19rocblas_complex_numIfEPKPS1_EviiT1_T2_llli.has_indirect_call, 0
	.section	.AMDGPU.csdata,"",@progbits
; Kernel info:
; codeLenInByte = 568
; TotalNumSgprs: 24
; NumVgprs: 16
; ScratchSize: 0
; MemoryBound: 0
; FloatMode: 240
; IeeeMode: 1
; LDSByteSize: 0 bytes/workgroup (compile time only)
; SGPRBlocks: 0
; VGPRBlocks: 0
; NumSGPRsForWavesPerEU: 24
; NumVGPRsForWavesPerEU: 16
; NamedBarCnt: 0
; Occupancy: 16
; WaveLimiterHint : 0
; COMPUTE_PGM_RSRC2:SCRATCH_EN: 0
; COMPUTE_PGM_RSRC2:USER_SGPR: 2
; COMPUTE_PGM_RSRC2:TRAP_HANDLER: 0
; COMPUTE_PGM_RSRC2:TGID_X_EN: 1
; COMPUTE_PGM_RSRC2:TGID_Y_EN: 1
; COMPUTE_PGM_RSRC2:TGID_Z_EN: 1
; COMPUTE_PGM_RSRC2:TIDIG_COMP_CNT: 1
	.section	.text._ZL24rocblas_symm_hemm_kernelILb0ELb0ELi32EPK19rocblas_complex_numIfEPKS3_PKPS1_EvbiiT2_T3_lllSA_lllT4_llli,"axG",@progbits,_ZL24rocblas_symm_hemm_kernelILb0ELb0ELi32EPK19rocblas_complex_numIfEPKS3_PKPS1_EvbiiT2_T3_lllSA_lllT4_llli,comdat
	.globl	_ZL24rocblas_symm_hemm_kernelILb0ELb0ELi32EPK19rocblas_complex_numIfEPKS3_PKPS1_EvbiiT2_T3_lllSA_lllT4_llli ; -- Begin function _ZL24rocblas_symm_hemm_kernelILb0ELb0ELi32EPK19rocblas_complex_numIfEPKS3_PKPS1_EvbiiT2_T3_lllSA_lllT4_llli
	.p2align	8
	.type	_ZL24rocblas_symm_hemm_kernelILb0ELb0ELi32EPK19rocblas_complex_numIfEPKS3_PKPS1_EvbiiT2_T3_lllSA_lllT4_llli,@function
_ZL24rocblas_symm_hemm_kernelILb0ELb0ELi32EPK19rocblas_complex_numIfEPKS3_PKPS1_EvbiiT2_T3_lllSA_lllT4_llli: ; @_ZL24rocblas_symm_hemm_kernelILb0ELb0ELi32EPK19rocblas_complex_numIfEPKS3_PKPS1_EvbiiT2_T3_lllSA_lllT4_llli
; %bb.0:
	s_load_b256 s[4:11], s[0:1], 0x10
	s_wait_kmcnt 0x0
	s_load_b64 s[24:25], s[4:5], 0x0
	s_wait_kmcnt 0x0
	s_cmp_eq_f32 s24, 0
	s_cselect_b32 s2, -1, 0
	s_cmp_eq_f32 s25, 0
	s_cselect_b32 s3, -1, 0
	s_delay_alu instid0(SALU_CYCLE_1) | instskip(NEXT) | instid1(SALU_CYCLE_1)
	s_and_b32 s2, s2, s3
	s_and_b32 vcc_lo, exec_lo, s2
	s_cbranch_vccnz .LBB45_16
; %bb.1:
	s_load_b32 s3, s[0:1], 0x78
	s_bfe_u32 s2, ttmp6, 0x40014
	s_lshr_b32 s4, ttmp7, 16
	s_add_co_i32 s2, s2, 1
	s_bfe_u32 s12, ttmp6, 0x40008
	s_mul_i32 s5, s4, s2
	s_getreg_b32 s2, hwreg(HW_REG_IB_STS2, 6, 4)
	s_add_co_i32 s12, s12, s5
	s_cmp_eq_u32 s2, 0
	s_cselect_b32 s23, s4, s12
	s_wait_kmcnt 0x0
	s_cmp_ge_u32 s23, s3
	s_cbranch_scc1 .LBB45_16
; %bb.2:
	s_clause 0x4
	s_load_b96 s[20:22], s[0:1], 0x0
	s_load_b128 s[12:15], s[0:1], 0x38
	s_load_b64 s[4:5], s[0:1], 0x68
	s_load_b64 s[26:27], s[0:1], 0x48
	s_load_b128 s[16:19], s[0:1], 0x58
	s_add_nc_u64 s[28:29], s[0:1], 0x80
	v_and_b32_e32 v20, 0x3ff, v0
	v_bfe_u32 v21, v0, 10, 10
	s_mov_b32 s30, s25
	s_delay_alu instid0(VALU_DEP_1) | instskip(NEXT) | instid1(VALU_DEP_1)
	v_dual_lshlrev_b32 v22, 8, v20 :: v_dual_lshlrev_b32 v0, 3, v21
	v_or_b32_e32 v24, 0x2000, v0
	s_delay_alu instid0(VALU_DEP_1)
	v_dual_add_nc_u32 v23, v22, v0 :: v_dual_add_nc_u32 v25, v24, v22
	s_wait_kmcnt 0x0
	s_bitcmp1_b32 s20, 0
	v_add_nc_u32_e32 v26, 0x800, v24
	s_cselect_b32 s0, -1, 0
	s_add_co_i32 s1, s22, -1
	s_bfe_u32 s31, ttmp6, 0x4000c
	s_bfe_u32 s34, ttmp6, 0x40010
	s_ashr_i32 s36, s1, 31
	s_and_b32 s33, ttmp7, 0xffff
	s_add_co_i32 s31, s31, 1
	s_add_co_i32 s34, s34, 1
	s_lshr_b32 s36, s36, 27
	s_and_b32 s20, ttmp6, 15
	s_bfe_u32 s35, ttmp6, 0x40004
	s_mul_i32 s31, ttmp9, s31
	s_mul_i32 s34, s33, s34
	s_add_co_i32 s1, s1, s36
	s_add_co_i32 s31, s20, s31
	;; [unrolled: 1-line block ×3, first 2 shown]
	s_ashr_i32 s20, s1, 5
	s_cmp_eq_u32 s2, 0
	v_add_nc_u32_e32 v27, 0x1000, v24
	s_cselect_b32 s1, ttmp9, s31
	s_cselect_b32 s33, s33, s35
	v_lshl_add_u32 v0, s1, 5, v20
	s_cmp_le_i32 s33, s20
	v_add_nc_u32_e32 v28, 0x1800, v24
	s_cselect_b32 s34, -1, 0
	s_cmp_gt_i32 s21, 0
	v_cmp_gt_i32_e64 s1, s21, v0
	v_ashrrev_i32_e32 v1, 31, v0
	s_mov_b32 s31, s24
	s_cselect_b32 s35, -1, 0
	s_lshl_b64 s[8:9], s[8:9], 3
	s_lshl_b64 s[14:15], s[14:15], 3
	;; [unrolled: 1-line block ×3, first 2 shown]
	s_branch .LBB45_4
.LBB45_3:                               ;   in Loop: Header=BB45_4 Depth=1
	s_add_co_i32 s23, s23, 0x10000
	s_delay_alu instid0(SALU_CYCLE_1)
	s_cmp_lt_u32 s23, s3
	s_cbranch_scc0 .LBB45_16
.LBB45_4:                               ; =>This Loop Header: Depth=1
                                        ;     Child Loop BB45_7 Depth 2
                                        ;       Child Loop BB45_10 Depth 3
	s_and_not1_b32 vcc_lo, exec_lo, s34
	s_cbranch_vccnz .LBB45_3
; %bb.5:                                ;   in Loop: Header=BB45_4 Depth=1
	v_mov_b32_e32 v8, s23
	s_mov_b32 s37, s33
	s_clause 0x2
	global_load_b64 v[2:3], v8, s[16:17] scale_offset
	global_load_b64 v[4:5], v8, s[6:7] scale_offset
	global_load_b64 v[6:7], v8, s[12:13] scale_offset
	s_load_b32 s36, s[28:29], 0x4
	s_wait_loadcnt 0x2
	v_add_nc_u64_e32 v[8:9], s[18:19], v[2:3]
	s_wait_loadcnt 0x1
	v_add_nc_u64_e32 v[2:3], s[8:9], v[4:5]
	;; [unrolled: 2-line block ×3, first 2 shown]
	s_delay_alu instid0(VALU_DEP_3)
	v_lshl_add_u64 v[6:7], v[0:1], 3, v[8:9]
	s_branch .LBB45_7
.LBB45_6:                               ;   in Loop: Header=BB45_7 Depth=2
	s_wait_kmcnt 0x0
	s_add_co_i32 s37, s37, s36
	s_delay_alu instid0(SALU_CYCLE_1)
	s_cmp_gt_i32 s37, s20
	s_cbranch_scc1 .LBB45_3
.LBB45_7:                               ;   Parent Loop BB45_4 Depth=1
                                        ; =>  This Loop Header: Depth=2
                                        ;       Child Loop BB45_10 Depth 3
	s_and_not1_b32 vcc_lo, exec_lo, s35
	s_cbranch_vccnz .LBB45_6
; %bb.8:                                ;   in Loop: Header=BB45_7 Depth=2
	v_lshl_add_u32 v8, s37, 5, v21
	s_mov_b32 s39, 0
	s_delay_alu instid0(VALU_DEP_1) | instskip(SKIP_1) | instid1(VALU_DEP_2)
	v_ashrrev_i32_e32 v9, 31, v8
	v_cmp_gt_i32_e32 vcc_lo, s22, v8
	v_mul_u64_e32 v[10:11], s[26:27], v[8:9]
	v_mul_u64_e32 v[12:13], s[4:5], v[8:9]
	s_and_b32 s38, s1, vcc_lo
	s_delay_alu instid0(VALU_DEP_2) | instskip(NEXT) | instid1(VALU_DEP_2)
	v_lshl_add_u64 v[8:9], v[10:11], 3, v[4:5]
	v_lshl_add_u64 v[10:11], v[12:13], 3, v[6:7]
	s_branch .LBB45_10
.LBB45_9:                               ;   in Loop: Header=BB45_10 Depth=3
	s_wait_xcnt 0x0
	s_or_b32 exec_lo, exec_lo, s2
	s_add_co_i32 s39, s39, 32
	s_wait_storecnt_dscnt 0x0
	s_cmp_ge_i32 s39, s21
	s_barrier_signal -1
	s_barrier_wait -1
	s_cbranch_scc1 .LBB45_6
.LBB45_10:                              ;   Parent Loop BB45_4 Depth=1
                                        ;     Parent Loop BB45_7 Depth=2
                                        ; =>    This Inner Loop Header: Depth=3
	v_dual_mov_b32 v15, 0 :: v_dual_add_nc_u32 v12, s39, v21
	s_mov_b32 s40, exec_lo
	s_delay_alu instid0(VALU_DEP_1) | instskip(SKIP_1) | instid1(VALU_DEP_1)
	v_cndmask_b32_e64 v13, v12, v0, s0
	v_cndmask_b32_e64 v14, v0, v12, s0
	v_cmp_gt_i32_e64 s2, v13, v14
	s_delay_alu instid0(VALU_DEP_1) | instskip(SKIP_1) | instid1(VALU_DEP_1)
	v_dual_mov_b32 v14, 0 :: v_dual_cndmask_b32 v16, v0, v12, s2
	v_dual_cndmask_b32 v18, v12, v0, s2 :: v_dual_mov_b32 v12, 0
	v_max_i32_e32 v13, v16, v18
	s_delay_alu instid0(VALU_DEP_1)
	v_cmpx_gt_i32_e64 s21, v13
	s_cbranch_execz .LBB45_12
; %bb.11:                               ;   in Loop: Header=BB45_10 Depth=3
	v_dual_ashrrev_i32 v19, 31, v18 :: v_dual_ashrrev_i32 v17, 31, v16
	s_delay_alu instid0(VALU_DEP_1) | instskip(NEXT) | instid1(VALU_DEP_1)
	v_mul_u64_e32 v[14:15], s[10:11], v[18:19]
	v_lshl_add_u64 v[14:15], v[14:15], 3, v[2:3]
	s_delay_alu instid0(VALU_DEP_1)
	v_lshl_add_u64 v[14:15], v[16:17], 3, v[14:15]
	flat_load_b64 v[14:15], v[14:15]
.LBB45_12:                              ;   in Loop: Header=BB45_10 Depth=3
	s_wait_xcnt 0x0
	s_or_b32 exec_lo, exec_lo, s40
	v_dual_mov_b32 v13, 0 :: v_dual_add_nc_u32 v16, s39, v20
	s_wait_loadcnt_dscnt 0x0
	ds_store_b64 v23, v[14:15]
	v_cmp_gt_i32_e64 s2, s21, v16
	s_and_b32 s40, s2, vcc_lo
	s_delay_alu instid0(SALU_CYCLE_1)
	s_and_saveexec_b32 s2, s40
	s_cbranch_execz .LBB45_14
; %bb.13:                               ;   in Loop: Header=BB45_10 Depth=3
	v_ashrrev_i32_e32 v17, 31, v16
	s_delay_alu instid0(VALU_DEP_1)
	v_lshl_add_u64 v[12:13], v[16:17], 3, v[8:9]
	flat_load_b64 v[12:13], v[12:13]
.LBB45_14:                              ;   in Loop: Header=BB45_10 Depth=3
	s_wait_xcnt 0x0
	s_or_b32 exec_lo, exec_lo, s2
	s_wait_loadcnt_dscnt 0x0
	ds_store_b64 v25, v[12:13]
	s_wait_dscnt 0x0
	s_barrier_signal -1
	s_barrier_wait -1
	s_and_saveexec_b32 s2, s38
	s_cbranch_execz .LBB45_9
; %bb.15:                               ;   in Loop: Header=BB45_10 Depth=3
	flat_load_b64 v[12:13], v[10:11]
	ds_load_2addr_b64 v[14:17], v24 offset1:32
	ds_load_b128 v[30:33], v22
	ds_load_b128 v[34:37], v22 offset:16
	ds_load_2addr_b64 v[38:41], v24 offset0:64 offset1:96
	ds_load_b128 v[42:45], v22 offset:32
	ds_load_2addr_b64 v[46:49], v24 offset0:128 offset1:160
	s_wait_dscnt 0x4
	v_dual_mul_f32 v18, v15, v31 :: v_dual_mul_f32 v19, v14, v31
	s_wait_dscnt 0x2
	v_dual_mul_f32 v31, v39, v35 :: v_dual_mul_f32 v35, v38, v35
	s_delay_alu instid0(VALU_DEP_2) | instskip(SKIP_1) | instid1(VALU_DEP_3)
	v_dual_fma_f32 v14, v14, v30, -v18 :: v_dual_fmac_f32 v19, v15, v30
	v_dual_mul_f32 v15, v17, v33 :: v_dual_mul_f32 v18, v16, v33
	v_fmac_f32_e32 v35, v39, v34
	s_delay_alu instid0(VALU_DEP_3) | instskip(NEXT) | instid1(VALU_DEP_3)
	v_dual_add_f32 v29, 0, v14 :: v_dual_add_f32 v19, 0, v19
	v_dual_fma_f32 v30, v16, v32, -v15 :: v_dual_fmac_f32 v18, v17, v32
	ds_load_b128 v[14:17], v22 offset:48
	v_add_f32_e32 v29, v29, v30
	v_fma_f32 v30, v38, v34, -v31
	v_dual_add_f32 v18, v19, v18 :: v_dual_mul_f32 v19, v41, v37
	s_delay_alu instid0(VALU_DEP_1) | instskip(NEXT) | instid1(VALU_DEP_1)
	v_dual_mul_f32 v34, v40, v37 :: v_dual_fma_f32 v19, v40, v36, -v19
	v_fmac_f32_e32 v34, v41, v36
	s_delay_alu instid0(VALU_DEP_3) | instskip(SKIP_4) | instid1(VALU_DEP_2)
	v_dual_add_f32 v29, v29, v30 :: v_dual_add_f32 v18, v18, v35
	ds_load_2addr_b64 v[30:33], v24 offset0:192 offset1:224
	s_wait_dscnt 0x2
	v_dual_mul_f32 v35, v47, v43 :: v_dual_mul_f32 v43, v46, v43
	v_dual_add_f32 v19, v29, v19 :: v_dual_add_f32 v18, v18, v34
	v_fma_f32 v29, v46, v42, -v35
	ds_load_b128 v[34:37], v22 offset:64
	ds_load_2addr_b64 v[38:41], v26 offset1:32
	v_dual_fmac_f32 v43, v47, v42 :: v_dual_mul_f32 v42, v49, v45
	v_mul_f32_e32 v45, v48, v45
	s_delay_alu instid0(VALU_DEP_2) | instskip(NEXT) | instid1(VALU_DEP_2)
	v_dual_add_f32 v19, v19, v29 :: v_dual_add_f32 v18, v18, v43
	v_dual_fma_f32 v29, v48, v44, -v42 :: v_dual_fmac_f32 v45, v49, v44
	s_wait_dscnt 0x2
	v_dual_mul_f32 v42, v31, v15 :: v_dual_mul_f32 v15, v30, v15
	s_delay_alu instid0(VALU_DEP_2) | instskip(NEXT) | instid1(VALU_DEP_3)
	v_add_f32_e32 v19, v19, v29
	v_add_f32_e32 v18, v18, v45
	s_delay_alu instid0(VALU_DEP_3)
	v_dual_fma_f32 v29, v30, v14, -v42 :: v_dual_fmac_f32 v15, v31, v14
	v_dual_mul_f32 v14, v33, v17 :: v_dual_mul_f32 v17, v32, v17
	ds_load_b128 v[42:45], v22 offset:80
	ds_load_2addr_b64 v[46:49], v26 offset0:64 offset1:96
	v_add_f32_e32 v19, v19, v29
	s_wait_dscnt 0x2
	v_dual_mul_f32 v29, v39, v35 :: v_dual_fma_f32 v14, v32, v16, -v14
	v_dual_add_f32 v15, v18, v15 :: v_dual_fmac_f32 v17, v33, v16
	s_delay_alu instid0(VALU_DEP_2) | instskip(NEXT) | instid1(VALU_DEP_3)
	v_dual_mul_f32 v18, v38, v35 :: v_dual_fma_f32 v16, v38, v34, -v29
	v_dual_add_f32 v14, v19, v14 :: v_dual_mul_f32 v29, v41, v37
	s_delay_alu instid0(VALU_DEP_3) | instskip(NEXT) | instid1(VALU_DEP_3)
	v_add_f32_e32 v19, v15, v17
	v_dual_fmac_f32 v18, v39, v34 :: v_dual_mul_f32 v35, v40, v37
	s_delay_alu instid0(VALU_DEP_3)
	v_add_f32_e32 v34, v14, v16
	ds_load_b128 v[14:17], v22 offset:96
	ds_load_2addr_b64 v[30:33], v26 offset0:128 offset1:160
	v_dual_fma_f32 v29, v40, v36, -v29 :: v_dual_add_f32 v18, v19, v18
	s_wait_dscnt 0x2
	v_dual_fmac_f32 v35, v41, v36 :: v_dual_mul_f32 v37, v47, v43
	s_delay_alu instid0(VALU_DEP_2) | instskip(SKIP_1) | instid1(VALU_DEP_3)
	v_add_f32_e32 v19, v34, v29
	v_dual_mul_f32 v29, v46, v43 :: v_dual_mul_f32 v36, v49, v45
	v_add_f32_e32 v18, v18, v35
	s_delay_alu instid0(VALU_DEP_4) | instskip(NEXT) | instid1(VALU_DEP_3)
	v_dual_fma_f32 v34, v46, v42, -v37 :: v_dual_mul_f32 v43, v48, v45
	v_dual_fmac_f32 v29, v47, v42 :: v_dual_fma_f32 v42, v48, v44, -v36
	s_delay_alu instid0(VALU_DEP_2)
	v_add_f32_e32 v19, v19, v34
	ds_load_b128 v[34:37], v22 offset:112
	ds_load_2addr_b64 v[38:41], v26 offset0:192 offset1:224
	v_dual_add_f32 v18, v18, v29 :: v_dual_fmac_f32 v43, v49, v44
	s_wait_dscnt 0x2
	v_mul_f32_e32 v45, v31, v15
	v_dual_add_f32 v19, v19, v42 :: v_dual_mul_f32 v15, v30, v15
	s_delay_alu instid0(VALU_DEP_2) | instskip(NEXT) | instid1(VALU_DEP_2)
	v_fma_f32 v29, v30, v14, -v45
	v_dual_add_f32 v18, v18, v43 :: v_dual_fmac_f32 v15, v31, v14
	ds_load_b128 v[42:45], v22 offset:128
	ds_load_2addr_b64 v[46:49], v27 offset1:32
	v_add_f32_e32 v14, v19, v29
	v_dual_mul_f32 v19, v33, v17 :: v_dual_mul_f32 v17, v32, v17
	s_delay_alu instid0(VALU_DEP_1) | instskip(SKIP_1) | instid1(VALU_DEP_2)
	v_dual_add_f32 v15, v18, v15 :: v_dual_fma_f32 v18, v32, v16, -v19
	s_wait_dscnt 0x2
	v_dual_fmac_f32 v17, v33, v16 :: v_dual_mul_f32 v16, v39, v35
	v_mul_f32_e32 v19, v38, v35
	s_delay_alu instid0(VALU_DEP_2) | instskip(NEXT) | instid1(VALU_DEP_2)
	v_dual_add_f32 v18, v14, v18 :: v_dual_add_f32 v29, v15, v17
	v_dual_fma_f32 v35, v38, v34, -v16 :: v_dual_fmac_f32 v19, v39, v34
	v_dual_mul_f32 v34, v41, v37 :: v_dual_mul_f32 v37, v40, v37
	ds_load_b128 v[14:17], v22 offset:144
	ds_load_2addr_b64 v[30:33], v27 offset0:64 offset1:96
	v_add_f32_e32 v18, v18, v35
	v_dual_add_f32 v19, v29, v19 :: v_dual_fma_f32 v29, v40, v36, -v34
	s_wait_dscnt 0x2
	v_dual_fmac_f32 v37, v41, v36 :: v_dual_mul_f32 v34, v47, v43
	s_delay_alu instid0(VALU_DEP_2) | instskip(NEXT) | instid1(VALU_DEP_2)
	v_add_f32_e32 v18, v18, v29
	v_dual_mul_f32 v43, v46, v43 :: v_dual_add_f32 v19, v19, v37
	s_delay_alu instid0(VALU_DEP_3) | instskip(SKIP_4) | instid1(VALU_DEP_2)
	v_fma_f32 v29, v46, v42, -v34
	ds_load_b128 v[34:37], v22 offset:160
	ds_load_2addr_b64 v[38:41], v27 offset0:128 offset1:160
	v_dual_fmac_f32 v43, v47, v42 :: v_dual_mul_f32 v42, v49, v45
	v_mul_f32_e32 v45, v48, v45
	v_dual_add_f32 v18, v18, v29 :: v_dual_fma_f32 v29, v48, v44, -v42
	s_wait_dscnt 0x2
	s_delay_alu instid0(VALU_DEP_2) | instskip(SKIP_3) | instid1(VALU_DEP_2)
	v_dual_mul_f32 v42, v31, v15 :: v_dual_fmac_f32 v45, v49, v44
	v_add_f32_e32 v19, v19, v43
	v_mul_f32_e32 v15, v30, v15
	v_add_f32_e32 v18, v18, v29
	v_dual_fma_f32 v29, v30, v14, -v42 :: v_dual_fmac_f32 v15, v31, v14
	v_mul_f32_e32 v14, v33, v17
	v_add_f32_e32 v19, v19, v45
	ds_load_b128 v[42:45], v22 offset:176
	ds_load_2addr_b64 v[46:49], v27 offset0:192 offset1:224
	s_wait_dscnt 0x2
	v_dual_add_f32 v18, v18, v29 :: v_dual_mul_f32 v29, v39, v35
	v_dual_fma_f32 v14, v32, v16, -v14 :: v_dual_mul_f32 v17, v32, v17
	s_delay_alu instid0(VALU_DEP_1) | instskip(NEXT) | instid1(VALU_DEP_2)
	v_dual_add_f32 v15, v19, v15 :: v_dual_add_f32 v14, v18, v14
	v_dual_fmac_f32 v17, v33, v16 :: v_dual_mul_f32 v18, v38, v35
	s_delay_alu instid0(VALU_DEP_4) | instskip(SKIP_1) | instid1(VALU_DEP_3)
	v_dual_fma_f32 v16, v38, v34, -v29 :: v_dual_mul_f32 v19, v41, v37
	v_mul_f32_e32 v35, v40, v37
	v_add_f32_e32 v29, v15, v17
	s_delay_alu instid0(VALU_DEP_3) | instskip(NEXT) | instid1(VALU_DEP_4)
	v_dual_fmac_f32 v18, v39, v34 :: v_dual_add_f32 v34, v14, v16
	v_fma_f32 v19, v40, v36, -v19
	ds_load_b128 v[14:17], v22 offset:192
	ds_load_2addr_b64 v[30:33], v28 offset1:32
	s_wait_dscnt 0x2
	v_dual_fmac_f32 v35, v41, v36 :: v_dual_mul_f32 v37, v47, v43
	v_dual_add_f32 v18, v29, v18 :: v_dual_add_f32 v19, v34, v19
	s_delay_alu instid0(VALU_DEP_2) | instskip(NEXT) | instid1(VALU_DEP_1)
	v_dual_mul_f32 v29, v46, v43 :: v_dual_fma_f32 v34, v46, v42, -v37
	v_dual_add_f32 v18, v18, v35 :: v_dual_fmac_f32 v29, v47, v42
	s_delay_alu instid0(VALU_DEP_2)
	v_dual_mul_f32 v42, v49, v45 :: v_dual_add_f32 v19, v19, v34
	ds_load_b128 v[34:37], v22 offset:208
	ds_load_2addr_b64 v[38:41], v28 offset0:64 offset1:96
	v_mul_f32_e32 v43, v48, v45
	v_dual_add_f32 v18, v18, v29 :: v_dual_fma_f32 v29, v48, v44, -v42
	s_wait_dscnt 0x2
	s_delay_alu instid0(VALU_DEP_2) | instskip(NEXT) | instid1(VALU_DEP_2)
	v_dual_fmac_f32 v43, v49, v44 :: v_dual_mul_f32 v42, v31, v15
	v_dual_mul_f32 v15, v30, v15 :: v_dual_add_f32 v19, v19, v29
	s_delay_alu instid0(VALU_DEP_2) | instskip(NEXT) | instid1(VALU_DEP_2)
	v_add_f32_e32 v18, v18, v43
	v_dual_fma_f32 v29, v30, v14, -v42 :: v_dual_fmac_f32 v15, v31, v14
	v_dual_mul_f32 v14, v33, v17 :: v_dual_mul_f32 v17, v32, v17
	ds_load_b128 v[42:45], v22 offset:224
	ds_load_2addr_b64 v[46:49], v28 offset0:128 offset1:160
	v_dual_add_f32 v19, v19, v29 :: v_dual_add_f32 v15, v18, v15
	v_dual_fma_f32 v14, v32, v16, -v14 :: v_dual_fmac_f32 v17, v33, v16
	s_wait_dscnt 0x2
	s_delay_alu instid0(VALU_DEP_1) | instskip(NEXT) | instid1(VALU_DEP_1)
	v_dual_mul_f32 v18, v38, v35 :: v_dual_add_f32 v19, v19, v14
	v_dual_mul_f32 v35, v39, v35 :: v_dual_fmac_f32 v18, v39, v34
	s_delay_alu instid0(VALU_DEP_3) | instskip(SKIP_4) | instid1(VALU_DEP_2)
	v_add_f32_e32 v29, v15, v17
	ds_load_b128 v[14:17], v22 offset:240
	ds_load_2addr_b64 v[30:33], v28 offset0:192 offset1:224
	v_dual_fma_f32 v34, v38, v34, -v35 :: v_dual_mul_f32 v39, v40, v37
	v_add_f32_e32 v18, v29, v18
	v_dual_mul_f32 v29, v41, v37 :: v_dual_add_f32 v19, v19, v34
	s_wait_dscnt 0x2
	s_delay_alu instid0(VALU_DEP_3) | instskip(NEXT) | instid1(VALU_DEP_2)
	v_dual_mul_f32 v35, v46, v43 :: v_dual_fmac_f32 v39, v41, v36
	v_dual_fma_f32 v29, v40, v36, -v29 :: v_dual_mul_f32 v34, v47, v43
	s_delay_alu instid0(VALU_DEP_2) | instskip(SKIP_1) | instid1(VALU_DEP_3)
	v_dual_fmac_f32 v35, v47, v42 :: v_dual_add_f32 v18, v18, v39
	v_mul_f32_e32 v36, v48, v45
	v_dual_add_f32 v19, v19, v29 :: v_dual_fma_f32 v29, v46, v42, -v34
	s_delay_alu instid0(VALU_DEP_3) | instskip(SKIP_1) | instid1(VALU_DEP_3)
	v_dual_mul_f32 v34, v49, v45 :: v_dual_add_f32 v18, v18, v35
	s_wait_dscnt 0x0
	v_dual_fmac_f32 v36, v49, v44 :: v_dual_mul_f32 v35, v30, v15
	s_delay_alu instid0(VALU_DEP_2) | instskip(NEXT) | instid1(VALU_DEP_2)
	v_dual_add_f32 v19, v19, v29 :: v_dual_fma_f32 v29, v48, v44, -v34
	v_dual_mul_f32 v15, v31, v15 :: v_dual_add_f32 v18, v18, v36
	s_delay_alu instid0(VALU_DEP_3) | instskip(NEXT) | instid1(VALU_DEP_2)
	v_dual_fmac_f32 v35, v31, v14 :: v_dual_mul_f32 v31, v32, v17
	v_dual_add_f32 v19, v19, v29 :: v_dual_fma_f32 v14, v30, v14, -v15
	s_delay_alu instid0(VALU_DEP_2) | instskip(NEXT) | instid1(VALU_DEP_2)
	v_dual_mul_f32 v17, v33, v17 :: v_dual_add_f32 v15, v18, v35
	v_dual_fmac_f32 v31, v33, v16 :: v_dual_add_f32 v18, v19, v14
	s_delay_alu instid0(VALU_DEP_2) | instskip(SKIP_1) | instid1(VALU_DEP_3)
	v_fma_f32 v19, v32, v16, -v17
	v_mov_b64_e32 v[16:17], s[30:31]
	v_add_f32_e32 v14, v15, v31
	s_delay_alu instid0(VALU_DEP_3) | instskip(NEXT) | instid1(VALU_DEP_2)
	v_add_f32_e32 v18, v18, v19
	v_pk_mul_f32 v[14:15], v[16:17], v[14:15] op_sel_hi:[1,0]
	v_mov_b64_e32 v[16:17], s[24:25]
	s_delay_alu instid0(VALU_DEP_1) | instskip(SKIP_1) | instid1(VALU_DEP_2)
	v_pk_fma_f32 v[30:31], v[16:17], v[18:19], v[14:15] op_sel_hi:[1,0,1]
	v_pk_fma_f32 v[14:15], v[16:17], v[18:19], v[14:15] neg_lo:[0,0,1] neg_hi:[0,0,1]
	v_mov_b32_e32 v15, v31
	s_wait_loadcnt 0x0
	s_delay_alu instid0(VALU_DEP_1)
	v_pk_add_f32 v[12:13], v[12:13], v[14:15]
	flat_store_b64 v[10:11], v[12:13]
	s_branch .LBB45_9
.LBB45_16:
	s_endpgm
	.section	.rodata,"a",@progbits
	.p2align	6, 0x0
	.amdhsa_kernel _ZL24rocblas_symm_hemm_kernelILb0ELb0ELi32EPK19rocblas_complex_numIfEPKS3_PKPS1_EvbiiT2_T3_lllSA_lllT4_llli
		.amdhsa_group_segment_fixed_size 16384
		.amdhsa_private_segment_fixed_size 0
		.amdhsa_kernarg_size 384
		.amdhsa_user_sgpr_count 2
		.amdhsa_user_sgpr_dispatch_ptr 0
		.amdhsa_user_sgpr_queue_ptr 0
		.amdhsa_user_sgpr_kernarg_segment_ptr 1
		.amdhsa_user_sgpr_dispatch_id 0
		.amdhsa_user_sgpr_kernarg_preload_length 0
		.amdhsa_user_sgpr_kernarg_preload_offset 0
		.amdhsa_user_sgpr_private_segment_size 0
		.amdhsa_wavefront_size32 1
		.amdhsa_uses_dynamic_stack 0
		.amdhsa_enable_private_segment 0
		.amdhsa_system_sgpr_workgroup_id_x 1
		.amdhsa_system_sgpr_workgroup_id_y 1
		.amdhsa_system_sgpr_workgroup_id_z 1
		.amdhsa_system_sgpr_workgroup_info 0
		.amdhsa_system_vgpr_workitem_id 1
		.amdhsa_next_free_vgpr 50
		.amdhsa_next_free_sgpr 41
		.amdhsa_named_barrier_count 0
		.amdhsa_reserve_vcc 1
		.amdhsa_float_round_mode_32 0
		.amdhsa_float_round_mode_16_64 0
		.amdhsa_float_denorm_mode_32 3
		.amdhsa_float_denorm_mode_16_64 3
		.amdhsa_fp16_overflow 0
		.amdhsa_memory_ordered 1
		.amdhsa_forward_progress 1
		.amdhsa_inst_pref_size 20
		.amdhsa_round_robin_scheduling 0
		.amdhsa_exception_fp_ieee_invalid_op 0
		.amdhsa_exception_fp_denorm_src 0
		.amdhsa_exception_fp_ieee_div_zero 0
		.amdhsa_exception_fp_ieee_overflow 0
		.amdhsa_exception_fp_ieee_underflow 0
		.amdhsa_exception_fp_ieee_inexact 0
		.amdhsa_exception_int_div_zero 0
	.end_amdhsa_kernel
	.section	.text._ZL24rocblas_symm_hemm_kernelILb0ELb0ELi32EPK19rocblas_complex_numIfEPKS3_PKPS1_EvbiiT2_T3_lllSA_lllT4_llli,"axG",@progbits,_ZL24rocblas_symm_hemm_kernelILb0ELb0ELi32EPK19rocblas_complex_numIfEPKS3_PKPS1_EvbiiT2_T3_lllSA_lllT4_llli,comdat
.Lfunc_end45:
	.size	_ZL24rocblas_symm_hemm_kernelILb0ELb0ELi32EPK19rocblas_complex_numIfEPKS3_PKPS1_EvbiiT2_T3_lllSA_lllT4_llli, .Lfunc_end45-_ZL24rocblas_symm_hemm_kernelILb0ELb0ELi32EPK19rocblas_complex_numIfEPKS3_PKPS1_EvbiiT2_T3_lllSA_lllT4_llli
                                        ; -- End function
	.set _ZL24rocblas_symm_hemm_kernelILb0ELb0ELi32EPK19rocblas_complex_numIfEPKS3_PKPS1_EvbiiT2_T3_lllSA_lllT4_llli.num_vgpr, 50
	.set _ZL24rocblas_symm_hemm_kernelILb0ELb0ELi32EPK19rocblas_complex_numIfEPKS3_PKPS1_EvbiiT2_T3_lllSA_lllT4_llli.num_agpr, 0
	.set _ZL24rocblas_symm_hemm_kernelILb0ELb0ELi32EPK19rocblas_complex_numIfEPKS3_PKPS1_EvbiiT2_T3_lllSA_lllT4_llli.numbered_sgpr, 41
	.set _ZL24rocblas_symm_hemm_kernelILb0ELb0ELi32EPK19rocblas_complex_numIfEPKS3_PKPS1_EvbiiT2_T3_lllSA_lllT4_llli.num_named_barrier, 0
	.set _ZL24rocblas_symm_hemm_kernelILb0ELb0ELi32EPK19rocblas_complex_numIfEPKS3_PKPS1_EvbiiT2_T3_lllSA_lllT4_llli.private_seg_size, 0
	.set _ZL24rocblas_symm_hemm_kernelILb0ELb0ELi32EPK19rocblas_complex_numIfEPKS3_PKPS1_EvbiiT2_T3_lllSA_lllT4_llli.uses_vcc, 1
	.set _ZL24rocblas_symm_hemm_kernelILb0ELb0ELi32EPK19rocblas_complex_numIfEPKS3_PKPS1_EvbiiT2_T3_lllSA_lllT4_llli.uses_flat_scratch, 0
	.set _ZL24rocblas_symm_hemm_kernelILb0ELb0ELi32EPK19rocblas_complex_numIfEPKS3_PKPS1_EvbiiT2_T3_lllSA_lllT4_llli.has_dyn_sized_stack, 0
	.set _ZL24rocblas_symm_hemm_kernelILb0ELb0ELi32EPK19rocblas_complex_numIfEPKS3_PKPS1_EvbiiT2_T3_lllSA_lllT4_llli.has_recursion, 0
	.set _ZL24rocblas_symm_hemm_kernelILb0ELb0ELi32EPK19rocblas_complex_numIfEPKS3_PKPS1_EvbiiT2_T3_lllSA_lllT4_llli.has_indirect_call, 0
	.section	.AMDGPU.csdata,"",@progbits
; Kernel info:
; codeLenInByte = 2436
; TotalNumSgprs: 43
; NumVgprs: 50
; ScratchSize: 0
; MemoryBound: 0
; FloatMode: 240
; IeeeMode: 1
; LDSByteSize: 16384 bytes/workgroup (compile time only)
; SGPRBlocks: 0
; VGPRBlocks: 3
; NumSGPRsForWavesPerEU: 43
; NumVGPRsForWavesPerEU: 50
; NamedBarCnt: 0
; Occupancy: 16
; WaveLimiterHint : 1
; COMPUTE_PGM_RSRC2:SCRATCH_EN: 0
; COMPUTE_PGM_RSRC2:USER_SGPR: 2
; COMPUTE_PGM_RSRC2:TRAP_HANDLER: 0
; COMPUTE_PGM_RSRC2:TGID_X_EN: 1
; COMPUTE_PGM_RSRC2:TGID_Y_EN: 1
; COMPUTE_PGM_RSRC2:TGID_Z_EN: 1
; COMPUTE_PGM_RSRC2:TIDIG_COMP_CNT: 1
	.section	.text._ZL24rocblas_symm_hemm_kernelILb0ELb1ELi32EPK19rocblas_complex_numIfEPKS3_PKPS1_EvbiiT2_T3_lllSA_lllT4_llli,"axG",@progbits,_ZL24rocblas_symm_hemm_kernelILb0ELb1ELi32EPK19rocblas_complex_numIfEPKS3_PKPS1_EvbiiT2_T3_lllSA_lllT4_llli,comdat
	.globl	_ZL24rocblas_symm_hemm_kernelILb0ELb1ELi32EPK19rocblas_complex_numIfEPKS3_PKPS1_EvbiiT2_T3_lllSA_lllT4_llli ; -- Begin function _ZL24rocblas_symm_hemm_kernelILb0ELb1ELi32EPK19rocblas_complex_numIfEPKS3_PKPS1_EvbiiT2_T3_lllSA_lllT4_llli
	.p2align	8
	.type	_ZL24rocblas_symm_hemm_kernelILb0ELb1ELi32EPK19rocblas_complex_numIfEPKS3_PKPS1_EvbiiT2_T3_lllSA_lllT4_llli,@function
_ZL24rocblas_symm_hemm_kernelILb0ELb1ELi32EPK19rocblas_complex_numIfEPKS3_PKPS1_EvbiiT2_T3_lllSA_lllT4_llli: ; @_ZL24rocblas_symm_hemm_kernelILb0ELb1ELi32EPK19rocblas_complex_numIfEPKS3_PKPS1_EvbiiT2_T3_lllSA_lllT4_llli
; %bb.0:
	s_load_b256 s[4:11], s[0:1], 0x10
	s_wait_kmcnt 0x0
	s_load_b64 s[2:3], s[4:5], 0x0
	s_wait_kmcnt 0x0
	s_cmp_eq_f32 s2, 0
	s_cselect_b32 s4, -1, 0
	s_cmp_eq_f32 s3, 0
	s_cselect_b32 s5, -1, 0
	s_delay_alu instid0(SALU_CYCLE_1) | instskip(NEXT) | instid1(SALU_CYCLE_1)
	s_and_b32 s4, s4, s5
	s_and_b32 vcc_lo, exec_lo, s4
	s_cbranch_vccnz .LBB46_16
; %bb.1:
	s_load_b32 s23, s[0:1], 0x78
	s_bfe_u32 s4, ttmp6, 0x40014
	s_lshr_b32 s5, ttmp7, 16
	s_add_co_i32 s4, s4, 1
	s_bfe_u32 s12, ttmp6, 0x40008
	s_mul_i32 s4, s5, s4
	s_getreg_b32 s31, hwreg(HW_REG_IB_STS2, 6, 4)
	s_add_co_i32 s12, s12, s4
	s_cmp_eq_u32 s31, 0
	s_cselect_b32 s30, s5, s12
	s_wait_kmcnt 0x0
	s_cmp_ge_u32 s30, s23
	s_cbranch_scc1 .LBB46_16
; %bb.2:
	s_clause 0x4
	s_load_b96 s[20:22], s[0:1], 0x0
	s_load_b128 s[12:15], s[0:1], 0x38
	s_load_b64 s[4:5], s[0:1], 0x68
	s_load_b64 s[24:25], s[0:1], 0x48
	s_load_b128 s[16:19], s[0:1], 0x58
	s_add_nc_u64 s[26:27], s[0:1], 0x80
	v_and_b32_e32 v20, 0x3ff, v0
	v_bfe_u32 v21, v0, 10, 10
	s_mov_b32 s28, s3
	s_mov_b32 s29, s2
	s_delay_alu instid0(VALU_DEP_1) | instskip(NEXT) | instid1(VALU_DEP_1)
	v_dual_lshlrev_b32 v22, 8, v20 :: v_dual_lshlrev_b32 v0, 3, v21
	v_or_b32_e32 v24, 0x2000, v0
	s_delay_alu instid0(VALU_DEP_1)
	v_dual_add_nc_u32 v23, v22, v0 :: v_dual_add_nc_u32 v25, v24, v22
	s_wait_kmcnt 0x0
	s_bitcmp1_b32 s20, 0
	v_add_nc_u32_e32 v26, 0x800, v24
	s_cselect_b32 s0, -1, 0
	s_add_co_i32 s1, s22, -1
	s_bfe_u32 s33, ttmp6, 0x4000c
	s_bfe_u32 s35, ttmp6, 0x40010
	s_ashr_i32 s37, s1, 31
	s_and_b32 s34, ttmp7, 0xffff
	s_add_co_i32 s33, s33, 1
	s_add_co_i32 s35, s35, 1
	s_lshr_b32 s37, s37, 27
	s_and_b32 s20, ttmp6, 15
	s_bfe_u32 s36, ttmp6, 0x40004
	s_mul_i32 s33, ttmp9, s33
	s_mul_i32 s35, s34, s35
	s_add_co_i32 s1, s1, s37
	s_add_co_i32 s33, s20, s33
	;; [unrolled: 1-line block ×3, first 2 shown]
	s_ashr_i32 s20, s1, 5
	s_cmp_eq_u32 s31, 0
	v_add_nc_u32_e32 v27, 0x1000, v24
	s_cselect_b32 s1, ttmp9, s33
	s_cselect_b32 s31, s34, s36
	v_lshl_add_u32 v0, s1, 5, v20
	s_cmp_le_i32 s31, s20
	v_add_nc_u32_e32 v28, 0x1800, v24
	s_cselect_b32 s33, -1, 0
	s_cmp_gt_i32 s22, 0
	v_ashrrev_i32_e32 v1, 31, v0
	v_cmp_gt_i32_e64 s1, s21, v0
	s_cselect_b32 s34, -1, 0
	s_lshl_b64 s[8:9], s[8:9], 3
	s_lshl_b64 s[18:19], s[18:19], 3
	v_lshlrev_b64_e32 v[0:1], 3, v[0:1]
	s_lshl_b64 s[14:15], s[14:15], 3
	s_branch .LBB46_4
.LBB46_3:                               ;   in Loop: Header=BB46_4 Depth=1
	s_add_co_i32 s30, s30, 0x10000
	s_delay_alu instid0(SALU_CYCLE_1)
	s_cmp_lt_u32 s30, s23
	s_cbranch_scc0 .LBB46_16
.LBB46_4:                               ; =>This Loop Header: Depth=1
                                        ;     Child Loop BB46_7 Depth 2
                                        ;       Child Loop BB46_10 Depth 3
	s_and_not1_b32 vcc_lo, exec_lo, s33
	s_cbranch_vccnz .LBB46_3
; %bb.5:                                ;   in Loop: Header=BB46_4 Depth=1
	v_mov_b32_e32 v8, s30
	s_mov_b32 s35, s31
	s_clause 0x2
	global_load_b64 v[2:3], v8, s[12:13] scale_offset
	global_load_b64 v[4:5], v8, s[16:17] scale_offset
	;; [unrolled: 1-line block ×3, first 2 shown]
	s_load_b32 s21, s[26:27], 0x4
	s_wait_loadcnt 0x2
	v_add_nc_u64_e32 v[8:9], s[14:15], v[2:3]
	s_wait_loadcnt 0x1
	v_add_nc_u64_e32 v[10:11], s[18:19], v[4:5]
	;; [unrolled: 2-line block ×3, first 2 shown]
	s_delay_alu instid0(VALU_DEP_3) | instskip(NEXT) | instid1(VALU_DEP_3)
	v_add_nc_u64_e32 v[4:5], v[8:9], v[0:1]
	v_add_nc_u64_e32 v[6:7], v[10:11], v[0:1]
	s_branch .LBB46_7
.LBB46_6:                               ;   in Loop: Header=BB46_7 Depth=2
	s_wait_kmcnt 0x0
	s_add_co_i32 s35, s35, s21
	s_delay_alu instid0(SALU_CYCLE_1)
	s_cmp_gt_i32 s35, s20
	s_cbranch_scc1 .LBB46_3
.LBB46_7:                               ;   Parent Loop BB46_4 Depth=1
                                        ; =>  This Loop Header: Depth=2
                                        ;       Child Loop BB46_10 Depth 3
	s_and_not1_b32 vcc_lo, exec_lo, s34
	s_cbranch_vccnz .LBB46_6
; %bb.8:                                ;   in Loop: Header=BB46_7 Depth=2
	v_lshl_add_u32 v8, s35, 5, v21
	s_mov_b32 s37, 0
	s_delay_alu instid0(VALU_DEP_1) | instskip(SKIP_1) | instid1(VALU_DEP_2)
	v_ashrrev_i32_e32 v9, 31, v8
	v_cmp_gt_i32_e32 vcc_lo, s22, v8
	v_mul_u64_e32 v[10:11], s[4:5], v[8:9]
	s_and_b32 s36, s1, vcc_lo
	s_delay_alu instid0(VALU_DEP_1)
	v_lshl_add_u64 v[10:11], v[10:11], 3, v[6:7]
	s_branch .LBB46_10
.LBB46_9:                               ;   in Loop: Header=BB46_10 Depth=3
	s_wait_xcnt 0x0
	s_or_b32 exec_lo, exec_lo, s38
	s_add_co_i32 s37, s37, 32
	s_wait_storecnt_dscnt 0x0
	s_cmp_ge_i32 s37, s22
	s_barrier_signal -1
	s_barrier_wait -1
	s_cbranch_scc1 .LBB46_6
.LBB46_10:                              ;   Parent Loop BB46_4 Depth=1
                                        ;     Parent Loop BB46_7 Depth=2
                                        ; =>    This Inner Loop Header: Depth=3
	v_dual_add_nc_u32 v16, s37, v21 :: v_dual_mov_b32 v12, 0
	v_dual_mov_b32 v14, 0 :: v_dual_mov_b32 v15, 0
	s_delay_alu instid0(VALU_DEP_2) | instskip(SKIP_1) | instid1(SALU_CYCLE_1)
	v_cmp_gt_i32_e32 vcc_lo, s22, v16
	s_and_b32 s39, s1, vcc_lo
	s_and_saveexec_b32 s38, s39
	s_cbranch_execz .LBB46_12
; %bb.11:                               ;   in Loop: Header=BB46_10 Depth=3
	v_ashrrev_i32_e32 v17, 31, v16
	s_delay_alu instid0(VALU_DEP_1) | instskip(NEXT) | instid1(VALU_DEP_1)
	v_mul_u64_e32 v[14:15], s[24:25], v[16:17]
	v_lshl_add_u64 v[14:15], v[14:15], 3, v[4:5]
	flat_load_b64 v[14:15], v[14:15]
.LBB46_12:                              ;   in Loop: Header=BB46_10 Depth=3
	s_wait_xcnt 0x0
	s_or_b32 exec_lo, exec_lo, s38
	v_add_nc_u32_e32 v9, s37, v20
	s_mov_b32 s38, exec_lo
	s_wait_loadcnt_dscnt 0x0
	ds_store_b64 v23, v[14:15]
	v_dual_cndmask_b32 v13, v8, v9, s0 :: v_dual_cndmask_b32 v16, v9, v8, s0
	s_delay_alu instid0(VALU_DEP_1) | instskip(SKIP_2) | instid1(VALU_DEP_1)
	v_cmp_gt_i32_e32 vcc_lo, v13, v16
	v_dual_mov_b32 v13, 0 :: v_dual_cndmask_b32 v16, v9, v8
	v_cndmask_b32_e32 v18, v8, v9, vcc_lo
	v_max_i32_e32 v9, v16, v18
	s_delay_alu instid0(VALU_DEP_1)
	v_cmpx_gt_i32_e64 s22, v9
	s_cbranch_execz .LBB46_14
; %bb.13:                               ;   in Loop: Header=BB46_10 Depth=3
	v_dual_ashrrev_i32 v19, 31, v18 :: v_dual_ashrrev_i32 v17, 31, v16
	s_delay_alu instid0(VALU_DEP_1) | instskip(NEXT) | instid1(VALU_DEP_1)
	v_mul_u64_e32 v[12:13], s[10:11], v[18:19]
	v_lshl_add_u64 v[12:13], v[12:13], 3, v[2:3]
	s_delay_alu instid0(VALU_DEP_1)
	v_lshl_add_u64 v[12:13], v[16:17], 3, v[12:13]
	flat_load_b64 v[12:13], v[12:13]
.LBB46_14:                              ;   in Loop: Header=BB46_10 Depth=3
	s_wait_xcnt 0x0
	s_or_b32 exec_lo, exec_lo, s38
	s_wait_loadcnt_dscnt 0x0
	ds_store_b64 v25, v[12:13]
	s_wait_dscnt 0x0
	s_barrier_signal -1
	s_barrier_wait -1
	s_and_saveexec_b32 s38, s36
	s_cbranch_execz .LBB46_9
; %bb.15:                               ;   in Loop: Header=BB46_10 Depth=3
	flat_load_b64 v[12:13], v[10:11]
	ds_load_2addr_b64 v[14:17], v24 offset1:32
	ds_load_b128 v[30:33], v22
	ds_load_b128 v[34:37], v22 offset:16
	ds_load_2addr_b64 v[38:41], v24 offset0:64 offset1:96
	ds_load_b128 v[42:45], v22 offset:32
	ds_load_2addr_b64 v[46:49], v24 offset0:128 offset1:160
	s_wait_dscnt 0x4
	v_dual_mul_f32 v9, v15, v31 :: v_dual_mul_f32 v18, v14, v31
	s_delay_alu instid0(VALU_DEP_1) | instskip(NEXT) | instid1(VALU_DEP_2)
	v_dual_mul_f32 v19, v16, v33 :: v_dual_fma_f32 v9, v14, v30, -v9
	v_dual_fmac_f32 v18, v15, v30 :: v_dual_mul_f32 v14, v17, v33
	s_wait_dscnt 0x2
	s_delay_alu instid0(VALU_DEP_2) | instskip(NEXT) | instid1(VALU_DEP_3)
	v_dual_mul_f32 v30, v39, v35 :: v_dual_fmac_f32 v19, v17, v32
	v_dual_mul_f32 v35, v38, v35 :: v_dual_add_f32 v9, 0, v9
	s_delay_alu instid0(VALU_DEP_3)
	v_dual_add_f32 v18, 0, v18 :: v_dual_fma_f32 v29, v16, v32, -v14
	ds_load_b128 v[14:17], v22 offset:48
	v_dual_fmac_f32 v35, v39, v34 :: v_dual_add_f32 v18, v18, v19
	v_dual_add_f32 v9, v9, v29 :: v_dual_fma_f32 v29, v38, v34, -v30
	v_dual_mul_f32 v19, v41, v37 :: v_dual_mul_f32 v34, v40, v37
	ds_load_2addr_b64 v[30:33], v24 offset0:192 offset1:224
	v_dual_add_f32 v18, v18, v35 :: v_dual_add_f32 v9, v9, v29
	v_dual_fma_f32 v19, v40, v36, -v19 :: v_dual_fmac_f32 v34, v41, v36
	s_wait_dscnt 0x2
	v_dual_mul_f32 v29, v47, v43 :: v_dual_mul_f32 v43, v46, v43
	s_delay_alu instid0(VALU_DEP_2) | instskip(SKIP_4) | instid1(VALU_DEP_2)
	v_dual_add_f32 v9, v9, v19 :: v_dual_add_f32 v18, v18, v34
	ds_load_b128 v[34:37], v22 offset:64
	ds_load_2addr_b64 v[38:41], v26 offset1:32
	v_dual_fma_f32 v19, v46, v42, -v29 :: v_dual_fmac_f32 v43, v47, v42
	v_dual_mul_f32 v29, v49, v45 :: v_dual_mul_f32 v42, v48, v45
	v_add_f32_e32 v9, v9, v19
	s_delay_alu instid0(VALU_DEP_2) | instskip(SKIP_1) | instid1(VALU_DEP_3)
	v_dual_add_f32 v18, v18, v43 :: v_dual_fma_f32 v19, v48, v44, -v29
	s_wait_dscnt 0x2
	v_dual_fmac_f32 v42, v49, v44 :: v_dual_mul_f32 v29, v31, v15
	v_mul_f32_e32 v15, v30, v15
	s_delay_alu instid0(VALU_DEP_2) | instskip(NEXT) | instid1(VALU_DEP_2)
	v_dual_add_f32 v9, v9, v19 :: v_dual_add_f32 v18, v18, v42
	v_dual_fma_f32 v19, v30, v14, -v29 :: v_dual_fmac_f32 v15, v31, v14
	v_dual_mul_f32 v14, v33, v17 :: v_dual_mul_f32 v17, v32, v17
	ds_load_b128 v[42:45], v22 offset:80
	ds_load_2addr_b64 v[46:49], v26 offset0:64 offset1:96
	v_add_f32_e32 v9, v9, v19
	s_wait_dscnt 0x2
	v_dual_mul_f32 v19, v39, v35 :: v_dual_fma_f32 v14, v32, v16, -v14
	v_dual_add_f32 v15, v18, v15 :: v_dual_fmac_f32 v17, v33, v16
	v_dual_mul_f32 v18, v38, v35 :: v_dual_mul_f32 v29, v41, v37
	s_delay_alu instid0(VALU_DEP_3) | instskip(NEXT) | instid1(VALU_DEP_3)
	v_add_f32_e32 v9, v9, v14
	v_dual_fma_f32 v14, v38, v34, -v19 :: v_dual_add_f32 v19, v15, v17
	s_delay_alu instid0(VALU_DEP_3) | instskip(NEXT) | instid1(VALU_DEP_2)
	v_dual_fmac_f32 v18, v39, v34 :: v_dual_mul_f32 v34, v40, v37
	v_dual_fma_f32 v29, v40, v36, -v29 :: v_dual_add_f32 v9, v9, v14
	ds_load_b128 v[14:17], v22 offset:96
	ds_load_2addr_b64 v[30:33], v26 offset0:128 offset1:160
	v_dual_add_f32 v18, v19, v18 :: v_dual_fmac_f32 v34, v41, v36
	s_wait_dscnt 0x2
	v_dual_add_f32 v9, v9, v29 :: v_dual_mul_f32 v35, v47, v43
	v_mul_f32_e32 v19, v46, v43
	s_delay_alu instid0(VALU_DEP_3) | instskip(NEXT) | instid1(VALU_DEP_3)
	v_add_f32_e32 v18, v18, v34
	v_dual_fma_f32 v29, v46, v42, -v35 :: v_dual_mul_f32 v35, v49, v45
	s_delay_alu instid0(VALU_DEP_3) | instskip(NEXT) | instid1(VALU_DEP_2)
	v_dual_fmac_f32 v19, v47, v42 :: v_dual_mul_f32 v42, v48, v45
	v_dual_add_f32 v9, v9, v29 :: v_dual_fma_f32 v29, v48, v44, -v35
	ds_load_b128 v[34:37], v22 offset:112
	ds_load_2addr_b64 v[38:41], v26 offset0:192 offset1:224
	v_dual_add_f32 v18, v18, v19 :: v_dual_fmac_f32 v42, v49, v44
	s_wait_dscnt 0x2
	v_dual_mul_f32 v43, v31, v15 :: v_dual_add_f32 v9, v9, v29
	s_delay_alu instid0(VALU_DEP_1) | instskip(NEXT) | instid1(VALU_DEP_3)
	v_dual_mul_f32 v15, v30, v15 :: v_dual_fma_f32 v19, v30, v14, -v43
	v_add_f32_e32 v18, v18, v42
	s_delay_alu instid0(VALU_DEP_2)
	v_dual_fmac_f32 v15, v31, v14 :: v_dual_mul_f32 v14, v33, v17
	ds_load_b128 v[42:45], v22 offset:128
	ds_load_2addr_b64 v[46:49], v27 offset1:32
	v_dual_add_f32 v9, v9, v19 :: v_dual_mul_f32 v17, v32, v17
	v_dual_add_f32 v15, v18, v15 :: v_dual_fma_f32 v14, v32, v16, -v14
	s_wait_dscnt 0x2
	s_delay_alu instid0(VALU_DEP_2) | instskip(NEXT) | instid1(VALU_DEP_2)
	v_dual_fmac_f32 v17, v33, v16 :: v_dual_mul_f32 v16, v39, v35
	v_dual_mul_f32 v18, v38, v35 :: v_dual_add_f32 v9, v9, v14
	v_mul_f32_e32 v35, v40, v37
	s_delay_alu instid0(VALU_DEP_3) | instskip(NEXT) | instid1(VALU_DEP_3)
	v_dual_add_f32 v19, v15, v17 :: v_dual_fma_f32 v29, v38, v34, -v16
	v_fmac_f32_e32 v18, v39, v34
	ds_load_b128 v[14:17], v22 offset:144
	ds_load_2addr_b64 v[30:33], v27 offset0:64 offset1:96
	v_dual_mul_f32 v34, v41, v37 :: v_dual_fmac_f32 v35, v41, v36
	v_dual_add_f32 v9, v9, v29 :: v_dual_add_f32 v18, v19, v18
	s_wait_dscnt 0x2
	v_dual_mul_f32 v29, v47, v43 :: v_dual_mul_f32 v43, v46, v43
	s_delay_alu instid0(VALU_DEP_2) | instskip(SKIP_4) | instid1(VALU_DEP_1)
	v_dual_fma_f32 v19, v40, v36, -v34 :: v_dual_add_f32 v18, v18, v35
	ds_load_b128 v[34:37], v22 offset:160
	ds_load_2addr_b64 v[38:41], v27 offset0:128 offset1:160
	v_dual_fmac_f32 v43, v47, v42 :: v_dual_add_f32 v9, v9, v19
	v_dual_fma_f32 v19, v46, v42, -v29 :: v_dual_mul_f32 v29, v49, v45
	v_dual_mul_f32 v42, v48, v45 :: v_dual_add_f32 v9, v9, v19
	s_wait_dscnt 0x2
	s_delay_alu instid0(VALU_DEP_2) | instskip(NEXT) | instid1(VALU_DEP_2)
	v_dual_fma_f32 v19, v48, v44, -v29 :: v_dual_mul_f32 v29, v31, v15
	v_dual_fmac_f32 v42, v49, v44 :: v_dual_mul_f32 v15, v30, v15
	s_delay_alu instid0(VALU_DEP_2) | instskip(NEXT) | instid1(VALU_DEP_2)
	v_dual_add_f32 v9, v9, v19 :: v_dual_fma_f32 v19, v30, v14, -v29
	v_dual_add_f32 v18, v18, v43 :: v_dual_fmac_f32 v15, v31, v14
	v_dual_mul_f32 v14, v33, v17 :: v_dual_mul_f32 v17, v32, v17
	s_delay_alu instid0(VALU_DEP_2)
	v_add_f32_e32 v18, v18, v42
	ds_load_b128 v[42:45], v22 offset:176
	ds_load_2addr_b64 v[46:49], v27 offset0:192 offset1:224
	v_dual_add_f32 v9, v9, v19 :: v_dual_fma_f32 v14, v32, v16, -v14
	s_wait_dscnt 0x2
	v_dual_mul_f32 v19, v39, v35 :: v_dual_fmac_f32 v17, v33, v16
	v_add_f32_e32 v15, v18, v15
	s_delay_alu instid0(VALU_DEP_3) | instskip(NEXT) | instid1(VALU_DEP_3)
	v_dual_mul_f32 v18, v38, v35 :: v_dual_add_f32 v9, v9, v14
	v_dual_fma_f32 v14, v38, v34, -v19 :: v_dual_mul_f32 v16, v41, v37
	s_delay_alu instid0(VALU_DEP_3) | instskip(NEXT) | instid1(VALU_DEP_3)
	v_add_f32_e32 v19, v15, v17
	v_dual_fmac_f32 v18, v39, v34 :: v_dual_mul_f32 v34, v40, v37
	s_delay_alu instid0(VALU_DEP_3)
	v_dual_add_f32 v9, v9, v14 :: v_dual_fma_f32 v29, v40, v36, -v16
	ds_load_b128 v[14:17], v22 offset:192
	ds_load_2addr_b64 v[30:33], v28 offset1:32
	v_dual_add_f32 v18, v19, v18 :: v_dual_fmac_f32 v34, v41, v36
	s_wait_dscnt 0x2
	v_dual_add_f32 v9, v9, v29 :: v_dual_mul_f32 v35, v47, v43
	s_delay_alu instid0(VALU_DEP_1) | instskip(NEXT) | instid1(VALU_DEP_3)
	v_dual_mul_f32 v19, v46, v43 :: v_dual_fma_f32 v29, v46, v42, -v35
	v_add_f32_e32 v18, v18, v34
	ds_load_b128 v[34:37], v22 offset:208
	ds_load_2addr_b64 v[38:41], v28 offset0:64 offset1:96
	v_dual_fmac_f32 v19, v47, v42 :: v_dual_add_f32 v9, v9, v29
	v_dual_mul_f32 v29, v49, v45 :: v_dual_mul_f32 v42, v48, v45
	s_delay_alu instid0(VALU_DEP_1) | instskip(SKIP_1) | instid1(VALU_DEP_2)
	v_dual_add_f32 v18, v18, v19 :: v_dual_fma_f32 v19, v48, v44, -v29
	s_wait_dscnt 0x2
	v_dual_fmac_f32 v42, v49, v44 :: v_dual_mul_f32 v29, v31, v15
	v_mul_f32_e32 v15, v30, v15
	s_delay_alu instid0(VALU_DEP_2) | instskip(NEXT) | instid1(VALU_DEP_2)
	v_dual_add_f32 v9, v9, v19 :: v_dual_add_f32 v18, v18, v42
	v_dual_fma_f32 v19, v30, v14, -v29 :: v_dual_fmac_f32 v15, v31, v14
	v_dual_mul_f32 v14, v33, v17 :: v_dual_mul_f32 v17, v32, v17
	ds_load_b128 v[42:45], v22 offset:224
	ds_load_2addr_b64 v[46:49], v28 offset0:128 offset1:160
	v_add_f32_e32 v9, v9, v19
	v_dual_add_f32 v15, v18, v15 :: v_dual_fma_f32 v14, v32, v16, -v14
	s_wait_dscnt 0x2
	v_dual_fmac_f32 v17, v33, v16 :: v_dual_mul_f32 v18, v38, v35
	s_delay_alu instid0(VALU_DEP_2) | instskip(NEXT) | instid1(VALU_DEP_2)
	v_dual_add_f32 v9, v9, v14 :: v_dual_mul_f32 v29, v39, v35
	v_fmac_f32_e32 v18, v39, v34
	s_delay_alu instid0(VALU_DEP_3)
	v_add_f32_e32 v19, v15, v17
	ds_load_b128 v[14:17], v22 offset:240
	ds_load_2addr_b64 v[30:33], v28 offset0:192 offset1:224
	v_dual_fma_f32 v29, v38, v34, -v29 :: v_dual_mul_f32 v35, v40, v37
	v_dual_add_f32 v18, v19, v18 :: v_dual_mul_f32 v19, v41, v37
	s_wait_dscnt 0x2
	s_delay_alu instid0(VALU_DEP_2) | instskip(NEXT) | instid1(VALU_DEP_3)
	v_dual_add_f32 v9, v9, v29 :: v_dual_mul_f32 v34, v46, v43
	v_fmac_f32_e32 v35, v41, v36
	s_delay_alu instid0(VALU_DEP_3) | instskip(NEXT) | instid1(VALU_DEP_2)
	v_dual_fma_f32 v19, v40, v36, -v19 :: v_dual_mul_f32 v29, v47, v43
	v_dual_fmac_f32 v34, v47, v42 :: v_dual_add_f32 v18, v18, v35
	s_delay_alu instid0(VALU_DEP_2) | instskip(NEXT) | instid1(VALU_DEP_3)
	v_dual_mul_f32 v35, v48, v45 :: v_dual_add_f32 v9, v9, v19
	v_dual_fma_f32 v19, v46, v42, -v29 :: v_dual_mul_f32 v29, v49, v45
	s_delay_alu instid0(VALU_DEP_2) | instskip(SKIP_2) | instid1(VALU_DEP_3)
	v_dual_add_f32 v18, v18, v34 :: v_dual_fmac_f32 v35, v49, v44
	s_wait_dscnt 0x0
	v_mul_f32_e32 v34, v30, v15
	v_dual_add_f32 v9, v9, v19 :: v_dual_fma_f32 v19, v48, v44, -v29
	v_mul_f32_e32 v15, v31, v15
	v_dual_add_f32 v18, v18, v35 :: v_dual_mul_f32 v29, v32, v17
	s_delay_alu instid0(VALU_DEP_4) | instskip(NEXT) | instid1(VALU_DEP_3)
	v_dual_fmac_f32 v34, v31, v14 :: v_dual_mul_f32 v17, v33, v17
	v_dual_add_f32 v9, v9, v19 :: v_dual_fma_f32 v14, v30, v14, -v15
	s_delay_alu instid0(VALU_DEP_2) | instskip(NEXT) | instid1(VALU_DEP_3)
	v_dual_fmac_f32 v29, v33, v16 :: v_dual_add_f32 v15, v18, v34
	v_fma_f32 v18, v32, v16, -v17
	v_mov_b64_e32 v[16:17], s[28:29]
	s_delay_alu instid0(VALU_DEP_3) | instskip(NEXT) | instid1(VALU_DEP_1)
	v_dual_add_f32 v9, v9, v14 :: v_dual_add_f32 v14, v15, v29
	v_add_f32_e32 v18, v9, v18
	s_delay_alu instid0(VALU_DEP_2) | instskip(SKIP_1) | instid1(VALU_DEP_1)
	v_pk_mul_f32 v[14:15], v[16:17], v[14:15] op_sel_hi:[1,0]
	v_mov_b64_e32 v[16:17], s[2:3]
	v_pk_fma_f32 v[30:31], v[16:17], v[18:19], v[14:15] op_sel_hi:[1,0,1]
	v_pk_fma_f32 v[14:15], v[16:17], v[18:19], v[14:15] neg_lo:[0,0,1] neg_hi:[0,0,1]
	s_delay_alu instid0(VALU_DEP_2) | instskip(SKIP_1) | instid1(VALU_DEP_1)
	v_mov_b32_e32 v15, v31
	s_wait_loadcnt 0x0
	v_pk_add_f32 v[12:13], v[12:13], v[14:15]
	flat_store_b64 v[10:11], v[12:13]
	s_branch .LBB46_9
.LBB46_16:
	s_endpgm
	.section	.rodata,"a",@progbits
	.p2align	6, 0x0
	.amdhsa_kernel _ZL24rocblas_symm_hemm_kernelILb0ELb1ELi32EPK19rocblas_complex_numIfEPKS3_PKPS1_EvbiiT2_T3_lllSA_lllT4_llli
		.amdhsa_group_segment_fixed_size 16384
		.amdhsa_private_segment_fixed_size 0
		.amdhsa_kernarg_size 384
		.amdhsa_user_sgpr_count 2
		.amdhsa_user_sgpr_dispatch_ptr 0
		.amdhsa_user_sgpr_queue_ptr 0
		.amdhsa_user_sgpr_kernarg_segment_ptr 1
		.amdhsa_user_sgpr_dispatch_id 0
		.amdhsa_user_sgpr_kernarg_preload_length 0
		.amdhsa_user_sgpr_kernarg_preload_offset 0
		.amdhsa_user_sgpr_private_segment_size 0
		.amdhsa_wavefront_size32 1
		.amdhsa_uses_dynamic_stack 0
		.amdhsa_enable_private_segment 0
		.amdhsa_system_sgpr_workgroup_id_x 1
		.amdhsa_system_sgpr_workgroup_id_y 1
		.amdhsa_system_sgpr_workgroup_id_z 1
		.amdhsa_system_sgpr_workgroup_info 0
		.amdhsa_system_vgpr_workitem_id 1
		.amdhsa_next_free_vgpr 50
		.amdhsa_next_free_sgpr 40
		.amdhsa_named_barrier_count 0
		.amdhsa_reserve_vcc 1
		.amdhsa_float_round_mode_32 0
		.amdhsa_float_round_mode_16_64 0
		.amdhsa_float_denorm_mode_32 3
		.amdhsa_float_denorm_mode_16_64 3
		.amdhsa_fp16_overflow 0
		.amdhsa_memory_ordered 1
		.amdhsa_forward_progress 1
		.amdhsa_inst_pref_size 19
		.amdhsa_round_robin_scheduling 0
		.amdhsa_exception_fp_ieee_invalid_op 0
		.amdhsa_exception_fp_denorm_src 0
		.amdhsa_exception_fp_ieee_div_zero 0
		.amdhsa_exception_fp_ieee_overflow 0
		.amdhsa_exception_fp_ieee_underflow 0
		.amdhsa_exception_fp_ieee_inexact 0
		.amdhsa_exception_int_div_zero 0
	.end_amdhsa_kernel
	.section	.text._ZL24rocblas_symm_hemm_kernelILb0ELb1ELi32EPK19rocblas_complex_numIfEPKS3_PKPS1_EvbiiT2_T3_lllSA_lllT4_llli,"axG",@progbits,_ZL24rocblas_symm_hemm_kernelILb0ELb1ELi32EPK19rocblas_complex_numIfEPKS3_PKPS1_EvbiiT2_T3_lllSA_lllT4_llli,comdat
.Lfunc_end46:
	.size	_ZL24rocblas_symm_hemm_kernelILb0ELb1ELi32EPK19rocblas_complex_numIfEPKS3_PKPS1_EvbiiT2_T3_lllSA_lllT4_llli, .Lfunc_end46-_ZL24rocblas_symm_hemm_kernelILb0ELb1ELi32EPK19rocblas_complex_numIfEPKS3_PKPS1_EvbiiT2_T3_lllSA_lllT4_llli
                                        ; -- End function
	.set _ZL24rocblas_symm_hemm_kernelILb0ELb1ELi32EPK19rocblas_complex_numIfEPKS3_PKPS1_EvbiiT2_T3_lllSA_lllT4_llli.num_vgpr, 50
	.set _ZL24rocblas_symm_hemm_kernelILb0ELb1ELi32EPK19rocblas_complex_numIfEPKS3_PKPS1_EvbiiT2_T3_lllSA_lllT4_llli.num_agpr, 0
	.set _ZL24rocblas_symm_hemm_kernelILb0ELb1ELi32EPK19rocblas_complex_numIfEPKS3_PKPS1_EvbiiT2_T3_lllSA_lllT4_llli.numbered_sgpr, 40
	.set _ZL24rocblas_symm_hemm_kernelILb0ELb1ELi32EPK19rocblas_complex_numIfEPKS3_PKPS1_EvbiiT2_T3_lllSA_lllT4_llli.num_named_barrier, 0
	.set _ZL24rocblas_symm_hemm_kernelILb0ELb1ELi32EPK19rocblas_complex_numIfEPKS3_PKPS1_EvbiiT2_T3_lllSA_lllT4_llli.private_seg_size, 0
	.set _ZL24rocblas_symm_hemm_kernelILb0ELb1ELi32EPK19rocblas_complex_numIfEPKS3_PKPS1_EvbiiT2_T3_lllSA_lllT4_llli.uses_vcc, 1
	.set _ZL24rocblas_symm_hemm_kernelILb0ELb1ELi32EPK19rocblas_complex_numIfEPKS3_PKPS1_EvbiiT2_T3_lllSA_lllT4_llli.uses_flat_scratch, 0
	.set _ZL24rocblas_symm_hemm_kernelILb0ELb1ELi32EPK19rocblas_complex_numIfEPKS3_PKPS1_EvbiiT2_T3_lllSA_lllT4_llli.has_dyn_sized_stack, 0
	.set _ZL24rocblas_symm_hemm_kernelILb0ELb1ELi32EPK19rocblas_complex_numIfEPKS3_PKPS1_EvbiiT2_T3_lllSA_lllT4_llli.has_recursion, 0
	.set _ZL24rocblas_symm_hemm_kernelILb0ELb1ELi32EPK19rocblas_complex_numIfEPKS3_PKPS1_EvbiiT2_T3_lllSA_lllT4_llli.has_indirect_call, 0
	.section	.AMDGPU.csdata,"",@progbits
; Kernel info:
; codeLenInByte = 2416
; TotalNumSgprs: 42
; NumVgprs: 50
; ScratchSize: 0
; MemoryBound: 0
; FloatMode: 240
; IeeeMode: 1
; LDSByteSize: 16384 bytes/workgroup (compile time only)
; SGPRBlocks: 0
; VGPRBlocks: 3
; NumSGPRsForWavesPerEU: 42
; NumVGPRsForWavesPerEU: 50
; NamedBarCnt: 0
; Occupancy: 16
; WaveLimiterHint : 1
; COMPUTE_PGM_RSRC2:SCRATCH_EN: 0
; COMPUTE_PGM_RSRC2:USER_SGPR: 2
; COMPUTE_PGM_RSRC2:TRAP_HANDLER: 0
; COMPUTE_PGM_RSRC2:TGID_X_EN: 1
; COMPUTE_PGM_RSRC2:TGID_Y_EN: 1
; COMPUTE_PGM_RSRC2:TGID_Z_EN: 1
; COMPUTE_PGM_RSRC2:TIDIG_COMP_CNT: 1
	.section	.text._ZL25rocblas_symm_scale_kernelILi128ELi8E19rocblas_complex_numIfEPKPS1_EviiT1_T2_llli,"axG",@progbits,_ZL25rocblas_symm_scale_kernelILi128ELi8E19rocblas_complex_numIfEPKPS1_EviiT1_T2_llli,comdat
	.globl	_ZL25rocblas_symm_scale_kernelILi128ELi8E19rocblas_complex_numIfEPKPS1_EviiT1_T2_llli ; -- Begin function _ZL25rocblas_symm_scale_kernelILi128ELi8E19rocblas_complex_numIfEPKPS1_EviiT1_T2_llli
	.p2align	8
	.type	_ZL25rocblas_symm_scale_kernelILi128ELi8E19rocblas_complex_numIfEPKPS1_EviiT1_T2_llli,@function
_ZL25rocblas_symm_scale_kernelILi128ELi8E19rocblas_complex_numIfEPKPS1_EviiT1_T2_llli: ; @_ZL25rocblas_symm_scale_kernelILi128ELi8E19rocblas_complex_numIfEPKPS1_EviiT1_T2_llli
; %bb.0:
	s_load_b128 s[4:7], s[0:1], 0x0
	s_wait_kmcnt 0x0
	s_cmp_eq_f32 s7, 0
	s_cselect_b32 s2, -1, 0
	s_cmp_eq_f32 s6, 1.0
	s_cselect_b32 s3, -1, 0
	s_delay_alu instid0(SALU_CYCLE_1) | instskip(NEXT) | instid1(SALU_CYCLE_1)
	s_and_b32 s2, s3, s2
	s_and_b32 vcc_lo, exec_lo, s2
	s_cbranch_vccnz .LBB47_9
; %bb.1:
	s_load_b32 s16, s[0:1], 0x30
	s_bfe_u32 s2, ttmp6, 0x40014
	s_lshr_b32 s3, ttmp7, 16
	s_add_co_i32 s2, s2, 1
	s_bfe_u32 s9, ttmp6, 0x40008
	s_mul_i32 s8, s3, s2
	s_getreg_b32 s2, hwreg(HW_REG_IB_STS2, 6, 4)
	s_add_co_i32 s9, s9, s8
	s_cmp_eq_u32 s2, 0
	s_cselect_b32 s17, s3, s9
	s_wait_kmcnt 0x0
	s_cmp_ge_u32 s17, s16
	s_cbranch_scc1 .LBB47_9
; %bb.2:
	s_load_b64 s[14:15], s[0:1], 0x20
	s_bfe_u32 s3, ttmp6, 0x40010
	s_bfe_u32 s9, ttmp6, 0x4000c
	s_and_b32 s8, ttmp7, 0xffff
	s_add_co_i32 s3, s3, 1
	s_add_co_i32 s9, s9, 1
	s_mul_i32 s3, s8, s3
	s_bfe_u32 s10, ttmp6, 0x40004
	s_and_b32 s11, ttmp6, 15
	s_mul_i32 s9, ttmp9, s9
	s_add_co_i32 s10, s10, s3
	s_add_co_i32 s3, s11, s9
	v_bfe_u32 v1, v0, 10, 10
	s_cmp_eq_u32 s2, 0
	v_mov_b32_e32 v3, 0
	s_cselect_b32 s2, s8, s10
	s_load_b128 s[8:11], s[0:1], 0x10
	v_lshl_add_u32 v2, s2, 3, v1
	v_and_b32_e32 v0, 0x3ff, v0
	s_cselect_b32 s2, ttmp9, s3
	s_mov_b32 s12, s5
	s_ashr_i32 s13, s5, 31
	s_wait_kmcnt 0x0
	v_mul_u64_e32 v[4:5], s[14:15], v[2:3]
	v_lshl_add_u32 v0, s2, 7, v0
	v_cmp_gt_i64_e32 vcc_lo, s[12:13], v[2:3]
	s_or_b32 s3, s6, s7
	v_mov_b32_e32 v1, v3
	s_bitset0_b32 s3, 31
	v_cmp_gt_u32_e64 s2, s4, v0
	s_add_nc_u64 s[0:1], s[0:1], 56
	s_mov_b32 s4, s6
	s_mov_b32 s5, s6
	;; [unrolled: 1-line block ×3, first 2 shown]
	s_and_b32 s18, s2, vcc_lo
	s_cmp_lg_u32 s3, 0
	s_cselect_b32 s19, -1, 0
	s_lshl_b64 s[2:3], s[10:11], 3
	s_lshl_b64 s[10:11], s[14:15], 3
	v_lshl_add_u64 v[4:5], v[4:5], 3, s[2:3]
	s_mov_b32 s3, 0
	s_delay_alu instid0(VALU_DEP_1)
	v_lshl_add_u64 v[0:1], v[0:1], 3, v[4:5]
	s_branch .LBB47_4
.LBB47_3:                               ;   in Loop: Header=BB47_4 Depth=1
	s_or_b32 exec_lo, exec_lo, s20
	s_add_co_i32 s17, s17, 0x10000
	s_delay_alu instid0(SALU_CYCLE_1)
	s_cmp_lt_u32 s17, s16
	s_cbranch_scc0 .LBB47_9
.LBB47_4:                               ; =>This Loop Header: Depth=1
                                        ;     Child Loop BB47_7 Depth 2
	s_and_saveexec_b32 s20, s18
	s_cbranch_execz .LBB47_3
; %bb.5:                                ;   in Loop: Header=BB47_4 Depth=1
	v_mov_b32_e32 v4, s17
	s_load_b32 s2, s[0:1], 0x4
	v_mov_b64_e32 v[6:7], v[2:3]
	s_mov_b32 s21, 0
	global_load_b64 v[4:5], v4, s[8:9] scale_offset
	s_wait_kmcnt 0x0
	s_lshl_b32 s2, s2, 3
	s_delay_alu instid0(SALU_CYCLE_1)
	s_mul_u64 s[14:15], s[10:11], s[2:3]
	s_wait_loadcnt 0x0
	s_wait_xcnt 0x0
	v_add_nc_u64_e32 v[4:5], v[4:5], v[0:1]
	s_branch .LBB47_7
.LBB47_6:                               ;   in Loop: Header=BB47_7 Depth=2
	v_add_nc_u64_e32 v[6:7], s[2:3], v[6:7]
	flat_store_b64 v[4:5], v[8:9]
	s_wait_xcnt 0x0
	v_add_nc_u64_e32 v[4:5], s[14:15], v[4:5]
	v_cmp_le_i64_e32 vcc_lo, s[12:13], v[6:7]
	s_or_b32 s21, vcc_lo, s21
	s_delay_alu instid0(SALU_CYCLE_1)
	s_and_not1_b32 exec_lo, exec_lo, s21
	s_cbranch_execz .LBB47_3
.LBB47_7:                               ;   Parent Loop BB47_4 Depth=1
                                        ; =>  This Inner Loop Header: Depth=2
	v_dual_mov_b32 v8, 0 :: v_dual_mov_b32 v9, 0
	s_and_not1_b32 vcc_lo, exec_lo, s19
	s_cbranch_vccnz .LBB47_6
; %bb.8:                                ;   in Loop: Header=BB47_7 Depth=2
	flat_load_b64 v[8:9], v[4:5]
	v_mov_b64_e32 v[10:11], s[6:7]
	v_mov_b64_e32 v[12:13], s[4:5]
	s_wait_loadcnt_dscnt 0x0
	s_delay_alu instid0(VALU_DEP_2) | instskip(NEXT) | instid1(VALU_DEP_1)
	v_pk_mul_f32 v[10:11], v[8:9], v[10:11] op_sel:[1,0] op_sel_hi:[0,1]
	v_pk_fma_f32 v[14:15], v[8:9], v[12:13], v[10:11]
	v_pk_fma_f32 v[8:9], v[8:9], v[12:13], v[10:11] neg_lo:[0,0,1] neg_hi:[0,0,1]
	s_delay_alu instid0(VALU_DEP_2)
	v_mov_b32_e32 v9, v15
	s_branch .LBB47_6
.LBB47_9:
	s_endpgm
	.section	.rodata,"a",@progbits
	.p2align	6, 0x0
	.amdhsa_kernel _ZL25rocblas_symm_scale_kernelILi128ELi8E19rocblas_complex_numIfEPKPS1_EviiT1_T2_llli
		.amdhsa_group_segment_fixed_size 0
		.amdhsa_private_segment_fixed_size 0
		.amdhsa_kernarg_size 312
		.amdhsa_user_sgpr_count 2
		.amdhsa_user_sgpr_dispatch_ptr 0
		.amdhsa_user_sgpr_queue_ptr 0
		.amdhsa_user_sgpr_kernarg_segment_ptr 1
		.amdhsa_user_sgpr_dispatch_id 0
		.amdhsa_user_sgpr_kernarg_preload_length 0
		.amdhsa_user_sgpr_kernarg_preload_offset 0
		.amdhsa_user_sgpr_private_segment_size 0
		.amdhsa_wavefront_size32 1
		.amdhsa_uses_dynamic_stack 0
		.amdhsa_enable_private_segment 0
		.amdhsa_system_sgpr_workgroup_id_x 1
		.amdhsa_system_sgpr_workgroup_id_y 1
		.amdhsa_system_sgpr_workgroup_id_z 1
		.amdhsa_system_sgpr_workgroup_info 0
		.amdhsa_system_vgpr_workitem_id 1
		.amdhsa_next_free_vgpr 16
		.amdhsa_next_free_sgpr 22
		.amdhsa_named_barrier_count 0
		.amdhsa_reserve_vcc 1
		.amdhsa_float_round_mode_32 0
		.amdhsa_float_round_mode_16_64 0
		.amdhsa_float_denorm_mode_32 3
		.amdhsa_float_denorm_mode_16_64 3
		.amdhsa_fp16_overflow 0
		.amdhsa_memory_ordered 1
		.amdhsa_forward_progress 1
		.amdhsa_inst_pref_size 5
		.amdhsa_round_robin_scheduling 0
		.amdhsa_exception_fp_ieee_invalid_op 0
		.amdhsa_exception_fp_denorm_src 0
		.amdhsa_exception_fp_ieee_div_zero 0
		.amdhsa_exception_fp_ieee_overflow 0
		.amdhsa_exception_fp_ieee_underflow 0
		.amdhsa_exception_fp_ieee_inexact 0
		.amdhsa_exception_int_div_zero 0
	.end_amdhsa_kernel
	.section	.text._ZL25rocblas_symm_scale_kernelILi128ELi8E19rocblas_complex_numIfEPKPS1_EviiT1_T2_llli,"axG",@progbits,_ZL25rocblas_symm_scale_kernelILi128ELi8E19rocblas_complex_numIfEPKPS1_EviiT1_T2_llli,comdat
.Lfunc_end47:
	.size	_ZL25rocblas_symm_scale_kernelILi128ELi8E19rocblas_complex_numIfEPKPS1_EviiT1_T2_llli, .Lfunc_end47-_ZL25rocblas_symm_scale_kernelILi128ELi8E19rocblas_complex_numIfEPKPS1_EviiT1_T2_llli
                                        ; -- End function
	.set _ZL25rocblas_symm_scale_kernelILi128ELi8E19rocblas_complex_numIfEPKPS1_EviiT1_T2_llli.num_vgpr, 16
	.set _ZL25rocblas_symm_scale_kernelILi128ELi8E19rocblas_complex_numIfEPKPS1_EviiT1_T2_llli.num_agpr, 0
	.set _ZL25rocblas_symm_scale_kernelILi128ELi8E19rocblas_complex_numIfEPKPS1_EviiT1_T2_llli.numbered_sgpr, 22
	.set _ZL25rocblas_symm_scale_kernelILi128ELi8E19rocblas_complex_numIfEPKPS1_EviiT1_T2_llli.num_named_barrier, 0
	.set _ZL25rocblas_symm_scale_kernelILi128ELi8E19rocblas_complex_numIfEPKPS1_EviiT1_T2_llli.private_seg_size, 0
	.set _ZL25rocblas_symm_scale_kernelILi128ELi8E19rocblas_complex_numIfEPKPS1_EviiT1_T2_llli.uses_vcc, 1
	.set _ZL25rocblas_symm_scale_kernelILi128ELi8E19rocblas_complex_numIfEPKPS1_EviiT1_T2_llli.uses_flat_scratch, 0
	.set _ZL25rocblas_symm_scale_kernelILi128ELi8E19rocblas_complex_numIfEPKPS1_EviiT1_T2_llli.has_dyn_sized_stack, 0
	.set _ZL25rocblas_symm_scale_kernelILi128ELi8E19rocblas_complex_numIfEPKPS1_EviiT1_T2_llli.has_recursion, 0
	.set _ZL25rocblas_symm_scale_kernelILi128ELi8E19rocblas_complex_numIfEPKPS1_EviiT1_T2_llli.has_indirect_call, 0
	.section	.AMDGPU.csdata,"",@progbits
; Kernel info:
; codeLenInByte = 560
; TotalNumSgprs: 24
; NumVgprs: 16
; ScratchSize: 0
; MemoryBound: 0
; FloatMode: 240
; IeeeMode: 1
; LDSByteSize: 0 bytes/workgroup (compile time only)
; SGPRBlocks: 0
; VGPRBlocks: 0
; NumSGPRsForWavesPerEU: 24
; NumVGPRsForWavesPerEU: 16
; NamedBarCnt: 0
; Occupancy: 16
; WaveLimiterHint : 0
; COMPUTE_PGM_RSRC2:SCRATCH_EN: 0
; COMPUTE_PGM_RSRC2:USER_SGPR: 2
; COMPUTE_PGM_RSRC2:TRAP_HANDLER: 0
; COMPUTE_PGM_RSRC2:TGID_X_EN: 1
; COMPUTE_PGM_RSRC2:TGID_Y_EN: 1
; COMPUTE_PGM_RSRC2:TGID_Z_EN: 1
; COMPUTE_PGM_RSRC2:TIDIG_COMP_CNT: 1
	.section	.text._ZL24rocblas_symm_hemm_kernelILb0ELb0ELi32E19rocblas_complex_numIfEPKPKS1_PKPS1_EvbiiT2_T3_lllSA_lllT4_llli,"axG",@progbits,_ZL24rocblas_symm_hemm_kernelILb0ELb0ELi32E19rocblas_complex_numIfEPKPKS1_PKPS1_EvbiiT2_T3_lllSA_lllT4_llli,comdat
	.globl	_ZL24rocblas_symm_hemm_kernelILb0ELb0ELi32E19rocblas_complex_numIfEPKPKS1_PKPS1_EvbiiT2_T3_lllSA_lllT4_llli ; -- Begin function _ZL24rocblas_symm_hemm_kernelILb0ELb0ELi32E19rocblas_complex_numIfEPKPKS1_PKPS1_EvbiiT2_T3_lllSA_lllT4_llli
	.p2align	8
	.type	_ZL24rocblas_symm_hemm_kernelILb0ELb0ELi32E19rocblas_complex_numIfEPKPKS1_PKPS1_EvbiiT2_T3_lllSA_lllT4_llli,@function
_ZL24rocblas_symm_hemm_kernelILb0ELb0ELi32E19rocblas_complex_numIfEPKPKS1_PKPS1_EvbiiT2_T3_lllSA_lllT4_llli: ; @_ZL24rocblas_symm_hemm_kernelILb0ELb0ELi32E19rocblas_complex_numIfEPKPKS1_PKPS1_EvbiiT2_T3_lllSA_lllT4_llli
; %bb.0:
	s_clause 0x1
	s_load_b128 s[4:7], s[0:1], 0x0
	s_load_b32 s21, s[0:1], 0x10
	s_wait_kmcnt 0x0
	s_cmp_eq_f32 s7, 0
	s_cselect_b32 s2, -1, 0
	s_cmp_eq_f32 s21, 0
	s_cselect_b32 s3, -1, 0
	s_delay_alu instid0(SALU_CYCLE_1) | instskip(NEXT) | instid1(SALU_CYCLE_1)
	s_and_b32 s2, s2, s3
	s_and_b32 vcc_lo, exec_lo, s2
	s_cbranch_vccnz .LBB48_16
; %bb.1:
	s_load_b32 s33, s[0:1], 0x78
	s_bfe_u32 s2, ttmp6, 0x40014
	s_lshr_b32 s8, ttmp7, 16
	s_add_co_i32 s2, s2, 1
	s_bfe_u32 s9, ttmp6, 0x40008
	s_mul_i32 s2, s8, s2
	s_getreg_b32 s3, hwreg(HW_REG_IB_STS2, 6, 4)
	s_add_co_i32 s9, s9, s2
	s_cmp_eq_u32 s3, 0
	s_cselect_b32 s34, s8, s9
	s_wait_kmcnt 0x0
	s_cmp_ge_u32 s34, s33
	s_cbranch_scc1 .LBB48_16
; %bb.2:
	s_bitcmp1_b32 s4, 0
	s_clause 0x1
	s_load_b128 s[8:11], s[0:1], 0x18
	s_load_b64 s[22:23], s[0:1], 0x28
	s_cselect_b32 s2, -1, 0
	s_add_co_i32 s4, s6, -1
	s_bfe_u32 s28, ttmp6, 0x4000c
	s_ashr_i32 s12, s4, 31
	s_bfe_u32 s30, ttmp6, 0x40010
	s_lshr_b32 s16, s12, 27
	s_clause 0x1
	s_load_b128 s[12:15], s[0:1], 0x38
	s_load_b64 s[24:25], s[0:1], 0x48
	s_add_co_i32 s4, s4, s16
	s_clause 0x1
	s_load_b64 s[26:27], s[0:1], 0x68
	s_load_b128 s[16:19], s[0:1], 0x58
	v_bfe_u32 v20, v0, 10, 10
	s_add_co_i32 s28, s28, 1
	s_and_b32 s31, ttmp7, 0xffff
	s_add_co_i32 s30, s30, 1
	s_and_b32 s29, ttmp6, 15
	s_mul_i32 s28, ttmp9, s28
	s_mul_i32 s30, s31, s30
	s_bfe_u32 s35, ttmp6, 0x40004
	s_ashr_i32 s4, s4, 5
	s_add_co_i32 s29, s29, s28
	s_add_co_i32 s35, s35, s30
	v_and_b32_e32 v21, 0x3ff, v0
	v_lshlrev_b32_e32 v1, 3, v20
	s_cmp_eq_u32 s3, 0
	s_mov_b32 s20, s7
	s_cselect_b32 s3, ttmp9, s29
	v_lshlrev_b32_e32 v22, 8, v21
	v_or_b32_e32 v23, 0x2000, v1
	v_lshl_add_u32 v0, s3, 5, v21
	s_cselect_b32 s35, s31, s35
	s_add_nc_u64 s[28:29], s[0:1], 0x80
	s_cmp_le_i32 s35, s4
	v_dual_add_nc_u32 v24, v22, v1 :: v_dual_add_nc_u32 v25, v23, v22
	v_cmp_gt_i32_e64 s3, s5, v0
	v_ashrrev_i32_e32 v1, 31, v0
	v_add_nc_u32_e32 v26, 0x800, v23
	v_add_nc_u32_e32 v27, 0x1000, v23
	;; [unrolled: 1-line block ×3, first 2 shown]
	s_cselect_b32 s36, -1, 0
	s_cmp_gt_i32 s5, 0
	s_mov_b32 s30, s21
	s_mov_b32 s31, s7
	s_wait_xcnt 0x0
	s_cselect_b32 s1, -1, 0
	s_wait_kmcnt 0x0
	s_lshl_b64 s[10:11], s[10:11], 3
	s_lshl_b64 s[14:15], s[14:15], 3
	;; [unrolled: 1-line block ×3, first 2 shown]
	s_branch .LBB48_4
.LBB48_3:                               ;   in Loop: Header=BB48_4 Depth=1
	s_add_co_i32 s34, s34, 0x10000
	s_delay_alu instid0(SALU_CYCLE_1)
	s_cmp_lt_u32 s34, s33
	s_cbranch_scc0 .LBB48_16
.LBB48_4:                               ; =>This Loop Header: Depth=1
                                        ;     Child Loop BB48_7 Depth 2
                                        ;       Child Loop BB48_10 Depth 3
	s_and_not1_b32 vcc_lo, exec_lo, s36
	s_cbranch_vccnz .LBB48_3
; %bb.5:                                ;   in Loop: Header=BB48_4 Depth=1
	v_mov_b32_e32 v8, s34
	s_mov_b32 s37, s35
	s_clause 0x2
	global_load_b64 v[2:3], v8, s[16:17] scale_offset
	global_load_b64 v[4:5], v8, s[8:9] scale_offset
	;; [unrolled: 1-line block ×3, first 2 shown]
	s_load_b32 s7, s[28:29], 0x4
	s_wait_loadcnt 0x2
	v_add_nc_u64_e32 v[8:9], s[18:19], v[2:3]
	s_wait_loadcnt 0x1
	v_add_nc_u64_e32 v[2:3], s[10:11], v[4:5]
	;; [unrolled: 2-line block ×3, first 2 shown]
	s_delay_alu instid0(VALU_DEP_3)
	v_lshl_add_u64 v[6:7], v[0:1], 3, v[8:9]
	s_branch .LBB48_7
.LBB48_6:                               ;   in Loop: Header=BB48_7 Depth=2
	s_wait_kmcnt 0x0
	s_add_co_i32 s37, s37, s7
	s_delay_alu instid0(SALU_CYCLE_1)
	s_cmp_gt_i32 s37, s4
	s_cbranch_scc1 .LBB48_3
.LBB48_7:                               ;   Parent Loop BB48_4 Depth=1
                                        ; =>  This Loop Header: Depth=2
                                        ;       Child Loop BB48_10 Depth 3
	s_and_not1_b32 vcc_lo, exec_lo, s1
	s_cbranch_vccnz .LBB48_6
; %bb.8:                                ;   in Loop: Header=BB48_7 Depth=2
	v_lshl_add_u32 v8, s37, 5, v20
	s_mov_b32 s39, 0
	s_delay_alu instid0(VALU_DEP_1) | instskip(SKIP_1) | instid1(VALU_DEP_2)
	v_ashrrev_i32_e32 v9, 31, v8
	v_cmp_gt_i32_e32 vcc_lo, s6, v8
	v_mul_u64_e32 v[10:11], s[24:25], v[8:9]
	v_mul_u64_e32 v[12:13], s[26:27], v[8:9]
	s_and_b32 s38, s3, vcc_lo
	s_delay_alu instid0(VALU_DEP_2) | instskip(NEXT) | instid1(VALU_DEP_2)
	v_lshl_add_u64 v[8:9], v[10:11], 3, v[4:5]
	v_lshl_add_u64 v[10:11], v[12:13], 3, v[6:7]
	s_branch .LBB48_10
.LBB48_9:                               ;   in Loop: Header=BB48_10 Depth=3
	s_wait_xcnt 0x0
	s_or_b32 exec_lo, exec_lo, s0
	s_add_co_i32 s39, s39, 32
	s_wait_storecnt_dscnt 0x0
	s_cmp_ge_i32 s39, s5
	s_barrier_signal -1
	s_barrier_wait -1
	s_cbranch_scc1 .LBB48_6
.LBB48_10:                              ;   Parent Loop BB48_4 Depth=1
                                        ;     Parent Loop BB48_7 Depth=2
                                        ; =>    This Inner Loop Header: Depth=3
	v_dual_mov_b32 v15, 0 :: v_dual_add_nc_u32 v12, s39, v20
	s_mov_b32 s40, exec_lo
	s_delay_alu instid0(VALU_DEP_1) | instskip(SKIP_1) | instid1(VALU_DEP_1)
	v_cndmask_b32_e64 v13, v12, v0, s2
	v_cndmask_b32_e64 v14, v0, v12, s2
	v_cmp_gt_i32_e64 s0, v13, v14
	s_delay_alu instid0(VALU_DEP_1) | instskip(SKIP_1) | instid1(VALU_DEP_1)
	v_dual_mov_b32 v14, 0 :: v_dual_cndmask_b32 v16, v0, v12, s0
	v_dual_cndmask_b32 v18, v12, v0, s0 :: v_dual_mov_b32 v12, 0
	v_max_i32_e32 v13, v16, v18
	s_delay_alu instid0(VALU_DEP_1)
	v_cmpx_gt_i32_e64 s5, v13
	s_cbranch_execz .LBB48_12
; %bb.11:                               ;   in Loop: Header=BB48_10 Depth=3
	v_dual_ashrrev_i32 v19, 31, v18 :: v_dual_ashrrev_i32 v17, 31, v16
	s_delay_alu instid0(VALU_DEP_1) | instskip(NEXT) | instid1(VALU_DEP_1)
	v_mul_u64_e32 v[14:15], s[22:23], v[18:19]
	v_lshl_add_u64 v[14:15], v[14:15], 3, v[2:3]
	s_delay_alu instid0(VALU_DEP_1)
	v_lshl_add_u64 v[14:15], v[16:17], 3, v[14:15]
	flat_load_b64 v[14:15], v[14:15]
.LBB48_12:                              ;   in Loop: Header=BB48_10 Depth=3
	s_wait_xcnt 0x0
	s_or_b32 exec_lo, exec_lo, s40
	v_dual_mov_b32 v13, 0 :: v_dual_add_nc_u32 v16, s39, v21
	s_wait_loadcnt_dscnt 0x0
	ds_store_b64 v24, v[14:15]
	v_cmp_gt_i32_e64 s0, s5, v16
	s_and_b32 s40, s0, vcc_lo
	s_delay_alu instid0(SALU_CYCLE_1)
	s_and_saveexec_b32 s0, s40
	s_cbranch_execz .LBB48_14
; %bb.13:                               ;   in Loop: Header=BB48_10 Depth=3
	v_ashrrev_i32_e32 v17, 31, v16
	s_delay_alu instid0(VALU_DEP_1)
	v_lshl_add_u64 v[12:13], v[16:17], 3, v[8:9]
	flat_load_b64 v[12:13], v[12:13]
.LBB48_14:                              ;   in Loop: Header=BB48_10 Depth=3
	s_wait_xcnt 0x0
	s_or_b32 exec_lo, exec_lo, s0
	s_wait_loadcnt_dscnt 0x0
	ds_store_b64 v25, v[12:13]
	s_wait_dscnt 0x0
	s_barrier_signal -1
	s_barrier_wait -1
	s_and_saveexec_b32 s0, s38
	s_cbranch_execz .LBB48_9
; %bb.15:                               ;   in Loop: Header=BB48_10 Depth=3
	flat_load_b64 v[12:13], v[10:11]
	ds_load_2addr_b64 v[14:17], v23 offset1:32
	ds_load_b128 v[30:33], v22
	ds_load_b128 v[34:37], v22 offset:16
	ds_load_2addr_b64 v[38:41], v23 offset0:64 offset1:96
	ds_load_b128 v[42:45], v22 offset:32
	ds_load_2addr_b64 v[46:49], v23 offset0:128 offset1:160
	s_wait_dscnt 0x4
	v_dual_mul_f32 v18, v15, v31 :: v_dual_mul_f32 v19, v14, v31
	s_wait_dscnt 0x2
	v_dual_mul_f32 v31, v39, v35 :: v_dual_mul_f32 v35, v38, v35
	s_delay_alu instid0(VALU_DEP_2) | instskip(SKIP_1) | instid1(VALU_DEP_3)
	v_dual_fma_f32 v14, v14, v30, -v18 :: v_dual_fmac_f32 v19, v15, v30
	v_dual_mul_f32 v15, v17, v33 :: v_dual_mul_f32 v18, v16, v33
	v_fmac_f32_e32 v35, v39, v34
	s_delay_alu instid0(VALU_DEP_3) | instskip(NEXT) | instid1(VALU_DEP_3)
	v_dual_add_f32 v29, 0, v14 :: v_dual_add_f32 v19, 0, v19
	v_dual_fma_f32 v30, v16, v32, -v15 :: v_dual_fmac_f32 v18, v17, v32
	ds_load_b128 v[14:17], v22 offset:48
	v_add_f32_e32 v29, v29, v30
	v_fma_f32 v30, v38, v34, -v31
	v_dual_add_f32 v18, v19, v18 :: v_dual_mul_f32 v19, v41, v37
	s_delay_alu instid0(VALU_DEP_1) | instskip(NEXT) | instid1(VALU_DEP_1)
	v_dual_mul_f32 v34, v40, v37 :: v_dual_fma_f32 v19, v40, v36, -v19
	v_fmac_f32_e32 v34, v41, v36
	s_delay_alu instid0(VALU_DEP_3) | instskip(SKIP_4) | instid1(VALU_DEP_2)
	v_dual_add_f32 v29, v29, v30 :: v_dual_add_f32 v18, v18, v35
	ds_load_2addr_b64 v[30:33], v23 offset0:192 offset1:224
	s_wait_dscnt 0x2
	v_dual_mul_f32 v35, v47, v43 :: v_dual_mul_f32 v43, v46, v43
	v_dual_add_f32 v19, v29, v19 :: v_dual_add_f32 v18, v18, v34
	v_fma_f32 v29, v46, v42, -v35
	ds_load_b128 v[34:37], v22 offset:64
	ds_load_2addr_b64 v[38:41], v26 offset1:32
	v_dual_fmac_f32 v43, v47, v42 :: v_dual_mul_f32 v42, v49, v45
	v_mul_f32_e32 v45, v48, v45
	s_delay_alu instid0(VALU_DEP_2) | instskip(NEXT) | instid1(VALU_DEP_2)
	v_dual_add_f32 v19, v19, v29 :: v_dual_add_f32 v18, v18, v43
	v_dual_fma_f32 v29, v48, v44, -v42 :: v_dual_fmac_f32 v45, v49, v44
	s_wait_dscnt 0x2
	v_dual_mul_f32 v42, v31, v15 :: v_dual_mul_f32 v15, v30, v15
	s_delay_alu instid0(VALU_DEP_2) | instskip(NEXT) | instid1(VALU_DEP_3)
	v_add_f32_e32 v19, v19, v29
	v_add_f32_e32 v18, v18, v45
	s_delay_alu instid0(VALU_DEP_3)
	v_dual_fma_f32 v29, v30, v14, -v42 :: v_dual_fmac_f32 v15, v31, v14
	v_dual_mul_f32 v14, v33, v17 :: v_dual_mul_f32 v17, v32, v17
	ds_load_b128 v[42:45], v22 offset:80
	ds_load_2addr_b64 v[46:49], v26 offset0:64 offset1:96
	v_add_f32_e32 v19, v19, v29
	s_wait_dscnt 0x2
	v_dual_mul_f32 v29, v39, v35 :: v_dual_fma_f32 v14, v32, v16, -v14
	v_dual_add_f32 v15, v18, v15 :: v_dual_fmac_f32 v17, v33, v16
	s_delay_alu instid0(VALU_DEP_2) | instskip(NEXT) | instid1(VALU_DEP_3)
	v_dual_mul_f32 v18, v38, v35 :: v_dual_fma_f32 v16, v38, v34, -v29
	v_dual_add_f32 v14, v19, v14 :: v_dual_mul_f32 v29, v41, v37
	s_delay_alu instid0(VALU_DEP_3) | instskip(NEXT) | instid1(VALU_DEP_3)
	v_add_f32_e32 v19, v15, v17
	v_dual_fmac_f32 v18, v39, v34 :: v_dual_mul_f32 v35, v40, v37
	s_delay_alu instid0(VALU_DEP_3)
	v_add_f32_e32 v34, v14, v16
	ds_load_b128 v[14:17], v22 offset:96
	ds_load_2addr_b64 v[30:33], v26 offset0:128 offset1:160
	v_dual_fma_f32 v29, v40, v36, -v29 :: v_dual_add_f32 v18, v19, v18
	s_wait_dscnt 0x2
	v_dual_fmac_f32 v35, v41, v36 :: v_dual_mul_f32 v37, v47, v43
	s_delay_alu instid0(VALU_DEP_2) | instskip(SKIP_1) | instid1(VALU_DEP_3)
	v_add_f32_e32 v19, v34, v29
	v_dual_mul_f32 v29, v46, v43 :: v_dual_mul_f32 v36, v49, v45
	v_add_f32_e32 v18, v18, v35
	s_delay_alu instid0(VALU_DEP_4) | instskip(NEXT) | instid1(VALU_DEP_3)
	v_dual_fma_f32 v34, v46, v42, -v37 :: v_dual_mul_f32 v43, v48, v45
	v_dual_fmac_f32 v29, v47, v42 :: v_dual_fma_f32 v42, v48, v44, -v36
	s_delay_alu instid0(VALU_DEP_2)
	v_add_f32_e32 v19, v19, v34
	ds_load_b128 v[34:37], v22 offset:112
	ds_load_2addr_b64 v[38:41], v26 offset0:192 offset1:224
	v_dual_add_f32 v18, v18, v29 :: v_dual_fmac_f32 v43, v49, v44
	s_wait_dscnt 0x2
	v_mul_f32_e32 v45, v31, v15
	v_dual_add_f32 v19, v19, v42 :: v_dual_mul_f32 v15, v30, v15
	s_delay_alu instid0(VALU_DEP_2) | instskip(NEXT) | instid1(VALU_DEP_2)
	v_fma_f32 v29, v30, v14, -v45
	v_dual_add_f32 v18, v18, v43 :: v_dual_fmac_f32 v15, v31, v14
	ds_load_b128 v[42:45], v22 offset:128
	ds_load_2addr_b64 v[46:49], v27 offset1:32
	v_add_f32_e32 v14, v19, v29
	v_dual_mul_f32 v19, v33, v17 :: v_dual_mul_f32 v17, v32, v17
	s_delay_alu instid0(VALU_DEP_1) | instskip(SKIP_1) | instid1(VALU_DEP_2)
	v_dual_add_f32 v15, v18, v15 :: v_dual_fma_f32 v18, v32, v16, -v19
	s_wait_dscnt 0x2
	v_dual_fmac_f32 v17, v33, v16 :: v_dual_mul_f32 v16, v39, v35
	v_mul_f32_e32 v19, v38, v35
	s_delay_alu instid0(VALU_DEP_2) | instskip(NEXT) | instid1(VALU_DEP_2)
	v_dual_add_f32 v18, v14, v18 :: v_dual_add_f32 v29, v15, v17
	v_dual_fma_f32 v35, v38, v34, -v16 :: v_dual_fmac_f32 v19, v39, v34
	v_dual_mul_f32 v34, v41, v37 :: v_dual_mul_f32 v37, v40, v37
	ds_load_b128 v[14:17], v22 offset:144
	ds_load_2addr_b64 v[30:33], v27 offset0:64 offset1:96
	v_add_f32_e32 v18, v18, v35
	v_dual_add_f32 v19, v29, v19 :: v_dual_fma_f32 v29, v40, v36, -v34
	s_wait_dscnt 0x2
	v_dual_fmac_f32 v37, v41, v36 :: v_dual_mul_f32 v34, v47, v43
	s_delay_alu instid0(VALU_DEP_2) | instskip(NEXT) | instid1(VALU_DEP_2)
	v_add_f32_e32 v18, v18, v29
	v_dual_mul_f32 v43, v46, v43 :: v_dual_add_f32 v19, v19, v37
	s_delay_alu instid0(VALU_DEP_3) | instskip(SKIP_4) | instid1(VALU_DEP_2)
	v_fma_f32 v29, v46, v42, -v34
	ds_load_b128 v[34:37], v22 offset:160
	ds_load_2addr_b64 v[38:41], v27 offset0:128 offset1:160
	v_dual_fmac_f32 v43, v47, v42 :: v_dual_mul_f32 v42, v49, v45
	v_mul_f32_e32 v45, v48, v45
	v_dual_add_f32 v18, v18, v29 :: v_dual_fma_f32 v29, v48, v44, -v42
	s_wait_dscnt 0x2
	s_delay_alu instid0(VALU_DEP_2) | instskip(SKIP_3) | instid1(VALU_DEP_2)
	v_dual_mul_f32 v42, v31, v15 :: v_dual_fmac_f32 v45, v49, v44
	v_add_f32_e32 v19, v19, v43
	v_mul_f32_e32 v15, v30, v15
	v_add_f32_e32 v18, v18, v29
	v_dual_fma_f32 v29, v30, v14, -v42 :: v_dual_fmac_f32 v15, v31, v14
	v_mul_f32_e32 v14, v33, v17
	v_add_f32_e32 v19, v19, v45
	ds_load_b128 v[42:45], v22 offset:176
	ds_load_2addr_b64 v[46:49], v27 offset0:192 offset1:224
	s_wait_dscnt 0x2
	v_dual_add_f32 v18, v18, v29 :: v_dual_mul_f32 v29, v39, v35
	v_dual_fma_f32 v14, v32, v16, -v14 :: v_dual_mul_f32 v17, v32, v17
	s_delay_alu instid0(VALU_DEP_1) | instskip(NEXT) | instid1(VALU_DEP_2)
	v_dual_add_f32 v15, v19, v15 :: v_dual_add_f32 v14, v18, v14
	v_dual_fmac_f32 v17, v33, v16 :: v_dual_mul_f32 v18, v38, v35
	s_delay_alu instid0(VALU_DEP_4) | instskip(SKIP_1) | instid1(VALU_DEP_3)
	v_dual_fma_f32 v16, v38, v34, -v29 :: v_dual_mul_f32 v19, v41, v37
	v_mul_f32_e32 v35, v40, v37
	v_add_f32_e32 v29, v15, v17
	s_delay_alu instid0(VALU_DEP_3) | instskip(NEXT) | instid1(VALU_DEP_4)
	v_dual_fmac_f32 v18, v39, v34 :: v_dual_add_f32 v34, v14, v16
	v_fma_f32 v19, v40, v36, -v19
	ds_load_b128 v[14:17], v22 offset:192
	ds_load_2addr_b64 v[30:33], v28 offset1:32
	s_wait_dscnt 0x2
	v_dual_fmac_f32 v35, v41, v36 :: v_dual_mul_f32 v37, v47, v43
	v_dual_add_f32 v18, v29, v18 :: v_dual_add_f32 v19, v34, v19
	s_delay_alu instid0(VALU_DEP_2) | instskip(NEXT) | instid1(VALU_DEP_1)
	v_dual_mul_f32 v29, v46, v43 :: v_dual_fma_f32 v34, v46, v42, -v37
	v_dual_add_f32 v18, v18, v35 :: v_dual_fmac_f32 v29, v47, v42
	s_delay_alu instid0(VALU_DEP_2)
	v_dual_mul_f32 v42, v49, v45 :: v_dual_add_f32 v19, v19, v34
	ds_load_b128 v[34:37], v22 offset:208
	ds_load_2addr_b64 v[38:41], v28 offset0:64 offset1:96
	v_mul_f32_e32 v43, v48, v45
	v_dual_add_f32 v18, v18, v29 :: v_dual_fma_f32 v29, v48, v44, -v42
	s_wait_dscnt 0x2
	s_delay_alu instid0(VALU_DEP_2) | instskip(NEXT) | instid1(VALU_DEP_2)
	v_dual_fmac_f32 v43, v49, v44 :: v_dual_mul_f32 v42, v31, v15
	v_dual_mul_f32 v15, v30, v15 :: v_dual_add_f32 v19, v19, v29
	s_delay_alu instid0(VALU_DEP_2) | instskip(NEXT) | instid1(VALU_DEP_2)
	v_add_f32_e32 v18, v18, v43
	v_dual_fma_f32 v29, v30, v14, -v42 :: v_dual_fmac_f32 v15, v31, v14
	v_dual_mul_f32 v14, v33, v17 :: v_dual_mul_f32 v17, v32, v17
	ds_load_b128 v[42:45], v22 offset:224
	ds_load_2addr_b64 v[46:49], v28 offset0:128 offset1:160
	v_dual_add_f32 v19, v19, v29 :: v_dual_add_f32 v15, v18, v15
	v_dual_fma_f32 v14, v32, v16, -v14 :: v_dual_fmac_f32 v17, v33, v16
	s_wait_dscnt 0x2
	s_delay_alu instid0(VALU_DEP_1) | instskip(NEXT) | instid1(VALU_DEP_1)
	v_dual_mul_f32 v18, v38, v35 :: v_dual_add_f32 v19, v19, v14
	v_dual_mul_f32 v35, v39, v35 :: v_dual_fmac_f32 v18, v39, v34
	s_delay_alu instid0(VALU_DEP_3) | instskip(SKIP_4) | instid1(VALU_DEP_2)
	v_add_f32_e32 v29, v15, v17
	ds_load_b128 v[14:17], v22 offset:240
	ds_load_2addr_b64 v[30:33], v28 offset0:192 offset1:224
	v_dual_fma_f32 v34, v38, v34, -v35 :: v_dual_mul_f32 v39, v40, v37
	v_add_f32_e32 v18, v29, v18
	v_dual_mul_f32 v29, v41, v37 :: v_dual_add_f32 v19, v19, v34
	s_wait_dscnt 0x2
	s_delay_alu instid0(VALU_DEP_3) | instskip(NEXT) | instid1(VALU_DEP_2)
	v_dual_mul_f32 v35, v46, v43 :: v_dual_fmac_f32 v39, v41, v36
	v_dual_fma_f32 v29, v40, v36, -v29 :: v_dual_mul_f32 v34, v47, v43
	s_delay_alu instid0(VALU_DEP_2) | instskip(SKIP_1) | instid1(VALU_DEP_3)
	v_dual_fmac_f32 v35, v47, v42 :: v_dual_add_f32 v18, v18, v39
	v_mul_f32_e32 v36, v48, v45
	v_dual_add_f32 v19, v19, v29 :: v_dual_fma_f32 v29, v46, v42, -v34
	s_delay_alu instid0(VALU_DEP_3) | instskip(SKIP_1) | instid1(VALU_DEP_3)
	v_dual_mul_f32 v34, v49, v45 :: v_dual_add_f32 v18, v18, v35
	s_wait_dscnt 0x0
	v_dual_fmac_f32 v36, v49, v44 :: v_dual_mul_f32 v35, v30, v15
	s_delay_alu instid0(VALU_DEP_2) | instskip(NEXT) | instid1(VALU_DEP_2)
	v_dual_add_f32 v19, v19, v29 :: v_dual_fma_f32 v29, v48, v44, -v34
	v_dual_mul_f32 v15, v31, v15 :: v_dual_add_f32 v18, v18, v36
	s_delay_alu instid0(VALU_DEP_3) | instskip(NEXT) | instid1(VALU_DEP_2)
	v_dual_fmac_f32 v35, v31, v14 :: v_dual_mul_f32 v31, v32, v17
	v_dual_add_f32 v19, v19, v29 :: v_dual_fma_f32 v14, v30, v14, -v15
	s_delay_alu instid0(VALU_DEP_2) | instskip(NEXT) | instid1(VALU_DEP_2)
	v_dual_mul_f32 v17, v33, v17 :: v_dual_add_f32 v15, v18, v35
	v_dual_fmac_f32 v31, v33, v16 :: v_dual_add_f32 v18, v19, v14
	s_delay_alu instid0(VALU_DEP_2) | instskip(SKIP_1) | instid1(VALU_DEP_3)
	v_fma_f32 v19, v32, v16, -v17
	v_mov_b64_e32 v[16:17], s[30:31]
	v_add_f32_e32 v14, v15, v31
	s_delay_alu instid0(VALU_DEP_3) | instskip(NEXT) | instid1(VALU_DEP_2)
	v_add_f32_e32 v18, v18, v19
	v_pk_mul_f32 v[14:15], v[16:17], v[14:15] op_sel_hi:[1,0]
	v_mov_b64_e32 v[16:17], s[20:21]
	s_delay_alu instid0(VALU_DEP_1) | instskip(SKIP_1) | instid1(VALU_DEP_2)
	v_pk_fma_f32 v[30:31], v[16:17], v[18:19], v[14:15] op_sel_hi:[1,0,1]
	v_pk_fma_f32 v[14:15], v[16:17], v[18:19], v[14:15] neg_lo:[0,0,1] neg_hi:[0,0,1]
	v_mov_b32_e32 v15, v31
	s_wait_loadcnt 0x0
	s_delay_alu instid0(VALU_DEP_1)
	v_pk_add_f32 v[12:13], v[12:13], v[14:15]
	flat_store_b64 v[10:11], v[12:13]
	s_branch .LBB48_9
.LBB48_16:
	s_endpgm
	.section	.rodata,"a",@progbits
	.p2align	6, 0x0
	.amdhsa_kernel _ZL24rocblas_symm_hemm_kernelILb0ELb0ELi32E19rocblas_complex_numIfEPKPKS1_PKPS1_EvbiiT2_T3_lllSA_lllT4_llli
		.amdhsa_group_segment_fixed_size 16384
		.amdhsa_private_segment_fixed_size 0
		.amdhsa_kernarg_size 384
		.amdhsa_user_sgpr_count 2
		.amdhsa_user_sgpr_dispatch_ptr 0
		.amdhsa_user_sgpr_queue_ptr 0
		.amdhsa_user_sgpr_kernarg_segment_ptr 1
		.amdhsa_user_sgpr_dispatch_id 0
		.amdhsa_user_sgpr_kernarg_preload_length 0
		.amdhsa_user_sgpr_kernarg_preload_offset 0
		.amdhsa_user_sgpr_private_segment_size 0
		.amdhsa_wavefront_size32 1
		.amdhsa_uses_dynamic_stack 0
		.amdhsa_enable_private_segment 0
		.amdhsa_system_sgpr_workgroup_id_x 1
		.amdhsa_system_sgpr_workgroup_id_y 1
		.amdhsa_system_sgpr_workgroup_id_z 1
		.amdhsa_system_sgpr_workgroup_info 0
		.amdhsa_system_vgpr_workitem_id 1
		.amdhsa_next_free_vgpr 50
		.amdhsa_next_free_sgpr 41
		.amdhsa_named_barrier_count 0
		.amdhsa_reserve_vcc 1
		.amdhsa_float_round_mode_32 0
		.amdhsa_float_round_mode_16_64 0
		.amdhsa_float_denorm_mode_32 3
		.amdhsa_float_denorm_mode_16_64 3
		.amdhsa_fp16_overflow 0
		.amdhsa_memory_ordered 1
		.amdhsa_forward_progress 1
		.amdhsa_inst_pref_size 20
		.amdhsa_round_robin_scheduling 0
		.amdhsa_exception_fp_ieee_invalid_op 0
		.amdhsa_exception_fp_denorm_src 0
		.amdhsa_exception_fp_ieee_div_zero 0
		.amdhsa_exception_fp_ieee_overflow 0
		.amdhsa_exception_fp_ieee_underflow 0
		.amdhsa_exception_fp_ieee_inexact 0
		.amdhsa_exception_int_div_zero 0
	.end_amdhsa_kernel
	.section	.text._ZL24rocblas_symm_hemm_kernelILb0ELb0ELi32E19rocblas_complex_numIfEPKPKS1_PKPS1_EvbiiT2_T3_lllSA_lllT4_llli,"axG",@progbits,_ZL24rocblas_symm_hemm_kernelILb0ELb0ELi32E19rocblas_complex_numIfEPKPKS1_PKPS1_EvbiiT2_T3_lllSA_lllT4_llli,comdat
.Lfunc_end48:
	.size	_ZL24rocblas_symm_hemm_kernelILb0ELb0ELi32E19rocblas_complex_numIfEPKPKS1_PKPS1_EvbiiT2_T3_lllSA_lllT4_llli, .Lfunc_end48-_ZL24rocblas_symm_hemm_kernelILb0ELb0ELi32E19rocblas_complex_numIfEPKPKS1_PKPS1_EvbiiT2_T3_lllSA_lllT4_llli
                                        ; -- End function
	.set _ZL24rocblas_symm_hemm_kernelILb0ELb0ELi32E19rocblas_complex_numIfEPKPKS1_PKPS1_EvbiiT2_T3_lllSA_lllT4_llli.num_vgpr, 50
	.set _ZL24rocblas_symm_hemm_kernelILb0ELb0ELi32E19rocblas_complex_numIfEPKPKS1_PKPS1_EvbiiT2_T3_lllSA_lllT4_llli.num_agpr, 0
	.set _ZL24rocblas_symm_hemm_kernelILb0ELb0ELi32E19rocblas_complex_numIfEPKPKS1_PKPS1_EvbiiT2_T3_lllSA_lllT4_llli.numbered_sgpr, 41
	.set _ZL24rocblas_symm_hemm_kernelILb0ELb0ELi32E19rocblas_complex_numIfEPKPKS1_PKPS1_EvbiiT2_T3_lllSA_lllT4_llli.num_named_barrier, 0
	.set _ZL24rocblas_symm_hemm_kernelILb0ELb0ELi32E19rocblas_complex_numIfEPKPKS1_PKPS1_EvbiiT2_T3_lllSA_lllT4_llli.private_seg_size, 0
	.set _ZL24rocblas_symm_hemm_kernelILb0ELb0ELi32E19rocblas_complex_numIfEPKPKS1_PKPS1_EvbiiT2_T3_lllSA_lllT4_llli.uses_vcc, 1
	.set _ZL24rocblas_symm_hemm_kernelILb0ELb0ELi32E19rocblas_complex_numIfEPKPKS1_PKPS1_EvbiiT2_T3_lllSA_lllT4_llli.uses_flat_scratch, 0
	.set _ZL24rocblas_symm_hemm_kernelILb0ELb0ELi32E19rocblas_complex_numIfEPKPKS1_PKPS1_EvbiiT2_T3_lllSA_lllT4_llli.has_dyn_sized_stack, 0
	.set _ZL24rocblas_symm_hemm_kernelILb0ELb0ELi32E19rocblas_complex_numIfEPKPKS1_PKPS1_EvbiiT2_T3_lllSA_lllT4_llli.has_recursion, 0
	.set _ZL24rocblas_symm_hemm_kernelILb0ELb0ELi32E19rocblas_complex_numIfEPKPKS1_PKPS1_EvbiiT2_T3_lllSA_lllT4_llli.has_indirect_call, 0
	.section	.AMDGPU.csdata,"",@progbits
; Kernel info:
; codeLenInByte = 2448
; TotalNumSgprs: 43
; NumVgprs: 50
; ScratchSize: 0
; MemoryBound: 0
; FloatMode: 240
; IeeeMode: 1
; LDSByteSize: 16384 bytes/workgroup (compile time only)
; SGPRBlocks: 0
; VGPRBlocks: 3
; NumSGPRsForWavesPerEU: 43
; NumVGPRsForWavesPerEU: 50
; NamedBarCnt: 0
; Occupancy: 16
; WaveLimiterHint : 1
; COMPUTE_PGM_RSRC2:SCRATCH_EN: 0
; COMPUTE_PGM_RSRC2:USER_SGPR: 2
; COMPUTE_PGM_RSRC2:TRAP_HANDLER: 0
; COMPUTE_PGM_RSRC2:TGID_X_EN: 1
; COMPUTE_PGM_RSRC2:TGID_Y_EN: 1
; COMPUTE_PGM_RSRC2:TGID_Z_EN: 1
; COMPUTE_PGM_RSRC2:TIDIG_COMP_CNT: 1
	.section	.text._ZL24rocblas_symm_hemm_kernelILb0ELb1ELi32E19rocblas_complex_numIfEPKPKS1_PKPS1_EvbiiT2_T3_lllSA_lllT4_llli,"axG",@progbits,_ZL24rocblas_symm_hemm_kernelILb0ELb1ELi32E19rocblas_complex_numIfEPKPKS1_PKPS1_EvbiiT2_T3_lllSA_lllT4_llli,comdat
	.globl	_ZL24rocblas_symm_hemm_kernelILb0ELb1ELi32E19rocblas_complex_numIfEPKPKS1_PKPS1_EvbiiT2_T3_lllSA_lllT4_llli ; -- Begin function _ZL24rocblas_symm_hemm_kernelILb0ELb1ELi32E19rocblas_complex_numIfEPKPKS1_PKPS1_EvbiiT2_T3_lllSA_lllT4_llli
	.p2align	8
	.type	_ZL24rocblas_symm_hemm_kernelILb0ELb1ELi32E19rocblas_complex_numIfEPKPKS1_PKPS1_EvbiiT2_T3_lllSA_lllT4_llli,@function
_ZL24rocblas_symm_hemm_kernelILb0ELb1ELi32E19rocblas_complex_numIfEPKPKS1_PKPS1_EvbiiT2_T3_lllSA_lllT4_llli: ; @_ZL24rocblas_symm_hemm_kernelILb0ELb1ELi32E19rocblas_complex_numIfEPKPKS1_PKPS1_EvbiiT2_T3_lllSA_lllT4_llli
; %bb.0:
	s_clause 0x1
	s_load_b128 s[4:7], s[0:1], 0x0
	s_load_b32 s21, s[0:1], 0x10
	s_wait_kmcnt 0x0
	s_cmp_eq_f32 s7, 0
	s_cselect_b32 s2, -1, 0
	s_cmp_eq_f32 s21, 0
	s_cselect_b32 s3, -1, 0
	s_delay_alu instid0(SALU_CYCLE_1) | instskip(NEXT) | instid1(SALU_CYCLE_1)
	s_and_b32 s2, s2, s3
	s_and_b32 vcc_lo, exec_lo, s2
	s_cbranch_vccnz .LBB49_16
; %bb.1:
	s_load_b32 s28, s[0:1], 0x78
	s_bfe_u32 s2, ttmp6, 0x40014
	s_lshr_b32 s8, ttmp7, 16
	s_add_co_i32 s2, s2, 1
	s_bfe_u32 s9, ttmp6, 0x40008
	s_mul_i32 s2, s8, s2
	s_getreg_b32 s3, hwreg(HW_REG_IB_STS2, 6, 4)
	s_add_co_i32 s9, s9, s2
	s_cmp_eq_u32 s3, 0
	s_cselect_b32 s29, s8, s9
	s_wait_kmcnt 0x0
	s_cmp_ge_u32 s29, s28
	s_cbranch_scc1 .LBB49_16
; %bb.2:
	s_bitcmp1_b32 s4, 0
	s_clause 0x1
	s_load_b128 s[8:11], s[0:1], 0x18
	s_load_b64 s[22:23], s[0:1], 0x28
	s_cselect_b32 s2, -1, 0
	s_add_co_i32 s4, s6, -1
	s_bfe_u32 s33, ttmp6, 0x40010
	s_ashr_i32 s12, s4, 31
	s_and_b32 s34, ttmp7, 0xffff
	s_lshr_b32 s16, s12, 27
	s_add_co_i32 s33, s33, 1
	s_add_co_i32 s4, s4, s16
	s_and_b32 s31, ttmp6, 15
	s_ashr_i32 s30, s4, 5
	s_bfe_u32 s4, ttmp6, 0x4000c
	s_mul_i32 s33, s34, s33
	s_add_co_i32 s4, s4, 1
	s_bfe_u32 s35, ttmp6, 0x40004
	s_mul_i32 s4, ttmp9, s4
	s_clause 0x3
	s_load_b128 s[12:15], s[0:1], 0x38
	s_load_b64 s[24:25], s[0:1], 0x48
	s_load_b64 s[26:27], s[0:1], 0x68
	s_load_b128 s[16:19], s[0:1], 0x58
	s_add_co_i32 s4, s31, s4
	s_add_co_i32 s35, s35, s33
	v_and_b32_e32 v21, 0x3ff, v0
	s_cmp_eq_u32 s3, 0
	v_bfe_u32 v20, v0, 10, 10
	s_cselect_b32 s3, ttmp9, s4
	s_cselect_b32 s31, s34, s35
	v_lshl_add_u32 v0, s3, 5, v21
	s_delay_alu instid0(VALU_DEP_2) | instskip(SKIP_2) | instid1(VALU_DEP_2)
	v_dual_lshlrev_b32 v22, 8, v21 :: v_dual_lshlrev_b32 v2, 3, v20
	s_cmp_le_i32 s31, s30
	s_mov_b32 s20, s7
	v_ashrrev_i32_e32 v1, 31, v0
	v_cmp_gt_i32_e64 s3, s5, v0
	v_or_b32_e32 v23, 0x2000, v2
	v_add_nc_u32_e32 v24, v22, v2
	s_cselect_b32 s33, -1, 0
	v_lshlrev_b64_e32 v[0:1], 3, v[0:1]
	s_cmp_gt_i32 s6, 0
	v_add_nc_u32_e32 v25, v23, v22
	v_add_nc_u32_e32 v26, 0x800, v23
	;; [unrolled: 1-line block ×4, first 2 shown]
	s_wait_xcnt 0x0
	s_add_nc_u64 s[0:1], s[0:1], 0x80
	s_mov_b32 s4, s21
	s_mov_b32 s5, s7
	s_cselect_b32 s7, -1, 0
	s_wait_kmcnt 0x0
	s_lshl_b64 s[10:11], s[10:11], 3
	s_lshl_b64 s[18:19], s[18:19], 3
	;; [unrolled: 1-line block ×3, first 2 shown]
	s_branch .LBB49_4
.LBB49_3:                               ;   in Loop: Header=BB49_4 Depth=1
	s_add_co_i32 s29, s29, 0x10000
	s_delay_alu instid0(SALU_CYCLE_1)
	s_cmp_lt_u32 s29, s28
	s_cbranch_scc0 .LBB49_16
.LBB49_4:                               ; =>This Loop Header: Depth=1
                                        ;     Child Loop BB49_7 Depth 2
                                        ;       Child Loop BB49_10 Depth 3
	s_and_not1_b32 vcc_lo, exec_lo, s33
	s_cbranch_vccnz .LBB49_3
; %bb.5:                                ;   in Loop: Header=BB49_4 Depth=1
	v_mov_b32_e32 v8, s29
	s_mov_b32 s35, s31
	s_clause 0x2
	global_load_b64 v[2:3], v8, s[12:13] scale_offset
	global_load_b64 v[4:5], v8, s[16:17] scale_offset
	;; [unrolled: 1-line block ×3, first 2 shown]
	s_load_b32 s34, s[0:1], 0x4
	s_wait_loadcnt 0x2
	v_add_nc_u64_e32 v[8:9], s[14:15], v[2:3]
	s_wait_loadcnt 0x1
	v_add_nc_u64_e32 v[10:11], s[18:19], v[4:5]
	;; [unrolled: 2-line block ×3, first 2 shown]
	s_delay_alu instid0(VALU_DEP_3) | instskip(NEXT) | instid1(VALU_DEP_3)
	v_add_nc_u64_e32 v[4:5], v[8:9], v[0:1]
	v_add_nc_u64_e32 v[6:7], v[10:11], v[0:1]
	s_branch .LBB49_7
.LBB49_6:                               ;   in Loop: Header=BB49_7 Depth=2
	s_wait_kmcnt 0x0
	s_add_co_i32 s35, s35, s34
	s_delay_alu instid0(SALU_CYCLE_1)
	s_cmp_gt_i32 s35, s30
	s_cbranch_scc1 .LBB49_3
.LBB49_7:                               ;   Parent Loop BB49_4 Depth=1
                                        ; =>  This Loop Header: Depth=2
                                        ;       Child Loop BB49_10 Depth 3
	s_and_not1_b32 vcc_lo, exec_lo, s7
	s_cbranch_vccnz .LBB49_6
; %bb.8:                                ;   in Loop: Header=BB49_7 Depth=2
	v_lshl_add_u32 v8, s35, 5, v20
	s_mov_b32 s37, 0
	s_delay_alu instid0(VALU_DEP_1) | instskip(SKIP_1) | instid1(VALU_DEP_2)
	v_ashrrev_i32_e32 v9, 31, v8
	v_cmp_gt_i32_e32 vcc_lo, s6, v8
	v_mul_u64_e32 v[10:11], s[26:27], v[8:9]
	s_and_b32 s36, s3, vcc_lo
	s_delay_alu instid0(VALU_DEP_1)
	v_lshl_add_u64 v[10:11], v[10:11], 3, v[6:7]
	s_branch .LBB49_10
.LBB49_9:                               ;   in Loop: Header=BB49_10 Depth=3
	s_wait_xcnt 0x0
	s_or_b32 exec_lo, exec_lo, s38
	s_add_co_i32 s37, s37, 32
	s_wait_storecnt_dscnt 0x0
	s_cmp_ge_i32 s37, s6
	s_barrier_signal -1
	s_barrier_wait -1
	s_cbranch_scc1 .LBB49_6
.LBB49_10:                              ;   Parent Loop BB49_4 Depth=1
                                        ;     Parent Loop BB49_7 Depth=2
                                        ; =>    This Inner Loop Header: Depth=3
	v_dual_add_nc_u32 v16, s37, v20 :: v_dual_mov_b32 v12, 0
	v_dual_mov_b32 v14, 0 :: v_dual_mov_b32 v15, 0
	s_delay_alu instid0(VALU_DEP_2) | instskip(SKIP_1) | instid1(SALU_CYCLE_1)
	v_cmp_gt_i32_e32 vcc_lo, s6, v16
	s_and_b32 s39, s3, vcc_lo
	s_and_saveexec_b32 s38, s39
	s_cbranch_execz .LBB49_12
; %bb.11:                               ;   in Loop: Header=BB49_10 Depth=3
	v_ashrrev_i32_e32 v17, 31, v16
	s_delay_alu instid0(VALU_DEP_1) | instskip(NEXT) | instid1(VALU_DEP_1)
	v_mul_u64_e32 v[14:15], s[24:25], v[16:17]
	v_lshl_add_u64 v[14:15], v[14:15], 3, v[4:5]
	flat_load_b64 v[14:15], v[14:15]
.LBB49_12:                              ;   in Loop: Header=BB49_10 Depth=3
	s_wait_xcnt 0x0
	s_or_b32 exec_lo, exec_lo, s38
	v_add_nc_u32_e32 v9, s37, v21
	s_mov_b32 s38, exec_lo
	s_wait_loadcnt_dscnt 0x0
	ds_store_b64 v24, v[14:15]
	v_dual_cndmask_b32 v13, v8, v9, s2 :: v_dual_cndmask_b32 v16, v9, v8, s2
	s_delay_alu instid0(VALU_DEP_1) | instskip(SKIP_2) | instid1(VALU_DEP_1)
	v_cmp_gt_i32_e32 vcc_lo, v13, v16
	v_dual_mov_b32 v13, 0 :: v_dual_cndmask_b32 v16, v9, v8
	v_cndmask_b32_e32 v18, v8, v9, vcc_lo
	v_max_i32_e32 v9, v16, v18
	s_delay_alu instid0(VALU_DEP_1)
	v_cmpx_gt_i32_e64 s6, v9
	s_cbranch_execz .LBB49_14
; %bb.13:                               ;   in Loop: Header=BB49_10 Depth=3
	v_dual_ashrrev_i32 v19, 31, v18 :: v_dual_ashrrev_i32 v17, 31, v16
	s_delay_alu instid0(VALU_DEP_1) | instskip(NEXT) | instid1(VALU_DEP_1)
	v_mul_u64_e32 v[12:13], s[22:23], v[18:19]
	v_lshl_add_u64 v[12:13], v[12:13], 3, v[2:3]
	s_delay_alu instid0(VALU_DEP_1)
	v_lshl_add_u64 v[12:13], v[16:17], 3, v[12:13]
	flat_load_b64 v[12:13], v[12:13]
.LBB49_14:                              ;   in Loop: Header=BB49_10 Depth=3
	s_wait_xcnt 0x0
	s_or_b32 exec_lo, exec_lo, s38
	s_wait_loadcnt_dscnt 0x0
	ds_store_b64 v25, v[12:13]
	s_wait_dscnt 0x0
	s_barrier_signal -1
	s_barrier_wait -1
	s_and_saveexec_b32 s38, s36
	s_cbranch_execz .LBB49_9
; %bb.15:                               ;   in Loop: Header=BB49_10 Depth=3
	flat_load_b64 v[12:13], v[10:11]
	ds_load_2addr_b64 v[14:17], v23 offset1:32
	ds_load_b128 v[30:33], v22
	ds_load_b128 v[34:37], v22 offset:16
	ds_load_2addr_b64 v[38:41], v23 offset0:64 offset1:96
	ds_load_b128 v[42:45], v22 offset:32
	ds_load_2addr_b64 v[46:49], v23 offset0:128 offset1:160
	s_wait_dscnt 0x4
	v_dual_mul_f32 v9, v15, v31 :: v_dual_mul_f32 v18, v14, v31
	s_delay_alu instid0(VALU_DEP_1) | instskip(NEXT) | instid1(VALU_DEP_2)
	v_dual_mul_f32 v19, v16, v33 :: v_dual_fma_f32 v9, v14, v30, -v9
	v_dual_fmac_f32 v18, v15, v30 :: v_dual_mul_f32 v14, v17, v33
	s_wait_dscnt 0x2
	s_delay_alu instid0(VALU_DEP_2) | instskip(NEXT) | instid1(VALU_DEP_3)
	v_dual_mul_f32 v30, v39, v35 :: v_dual_fmac_f32 v19, v17, v32
	v_dual_mul_f32 v35, v38, v35 :: v_dual_add_f32 v9, 0, v9
	s_delay_alu instid0(VALU_DEP_3)
	v_dual_add_f32 v18, 0, v18 :: v_dual_fma_f32 v29, v16, v32, -v14
	ds_load_b128 v[14:17], v22 offset:48
	v_dual_fmac_f32 v35, v39, v34 :: v_dual_add_f32 v18, v18, v19
	v_dual_add_f32 v9, v9, v29 :: v_dual_fma_f32 v29, v38, v34, -v30
	v_dual_mul_f32 v19, v41, v37 :: v_dual_mul_f32 v34, v40, v37
	ds_load_2addr_b64 v[30:33], v23 offset0:192 offset1:224
	v_dual_add_f32 v18, v18, v35 :: v_dual_add_f32 v9, v9, v29
	v_dual_fma_f32 v19, v40, v36, -v19 :: v_dual_fmac_f32 v34, v41, v36
	s_wait_dscnt 0x2
	v_dual_mul_f32 v29, v47, v43 :: v_dual_mul_f32 v43, v46, v43
	s_delay_alu instid0(VALU_DEP_2) | instskip(SKIP_4) | instid1(VALU_DEP_2)
	v_dual_add_f32 v9, v9, v19 :: v_dual_add_f32 v18, v18, v34
	ds_load_b128 v[34:37], v22 offset:64
	ds_load_2addr_b64 v[38:41], v26 offset1:32
	v_dual_fma_f32 v19, v46, v42, -v29 :: v_dual_fmac_f32 v43, v47, v42
	v_dual_mul_f32 v29, v49, v45 :: v_dual_mul_f32 v42, v48, v45
	v_add_f32_e32 v9, v9, v19
	s_delay_alu instid0(VALU_DEP_2) | instskip(SKIP_1) | instid1(VALU_DEP_3)
	v_dual_add_f32 v18, v18, v43 :: v_dual_fma_f32 v19, v48, v44, -v29
	s_wait_dscnt 0x2
	v_dual_fmac_f32 v42, v49, v44 :: v_dual_mul_f32 v29, v31, v15
	v_mul_f32_e32 v15, v30, v15
	s_delay_alu instid0(VALU_DEP_2) | instskip(NEXT) | instid1(VALU_DEP_2)
	v_dual_add_f32 v9, v9, v19 :: v_dual_add_f32 v18, v18, v42
	v_dual_fma_f32 v19, v30, v14, -v29 :: v_dual_fmac_f32 v15, v31, v14
	v_dual_mul_f32 v14, v33, v17 :: v_dual_mul_f32 v17, v32, v17
	ds_load_b128 v[42:45], v22 offset:80
	ds_load_2addr_b64 v[46:49], v26 offset0:64 offset1:96
	v_add_f32_e32 v9, v9, v19
	s_wait_dscnt 0x2
	v_dual_mul_f32 v19, v39, v35 :: v_dual_fma_f32 v14, v32, v16, -v14
	v_dual_add_f32 v15, v18, v15 :: v_dual_fmac_f32 v17, v33, v16
	v_dual_mul_f32 v18, v38, v35 :: v_dual_mul_f32 v29, v41, v37
	s_delay_alu instid0(VALU_DEP_3) | instskip(NEXT) | instid1(VALU_DEP_3)
	v_add_f32_e32 v9, v9, v14
	v_dual_fma_f32 v14, v38, v34, -v19 :: v_dual_add_f32 v19, v15, v17
	s_delay_alu instid0(VALU_DEP_3) | instskip(NEXT) | instid1(VALU_DEP_2)
	v_dual_fmac_f32 v18, v39, v34 :: v_dual_mul_f32 v34, v40, v37
	v_dual_fma_f32 v29, v40, v36, -v29 :: v_dual_add_f32 v9, v9, v14
	ds_load_b128 v[14:17], v22 offset:96
	ds_load_2addr_b64 v[30:33], v26 offset0:128 offset1:160
	v_dual_add_f32 v18, v19, v18 :: v_dual_fmac_f32 v34, v41, v36
	s_wait_dscnt 0x2
	v_dual_add_f32 v9, v9, v29 :: v_dual_mul_f32 v35, v47, v43
	v_mul_f32_e32 v19, v46, v43
	s_delay_alu instid0(VALU_DEP_3) | instskip(NEXT) | instid1(VALU_DEP_3)
	v_add_f32_e32 v18, v18, v34
	v_dual_fma_f32 v29, v46, v42, -v35 :: v_dual_mul_f32 v35, v49, v45
	s_delay_alu instid0(VALU_DEP_3) | instskip(NEXT) | instid1(VALU_DEP_2)
	v_dual_fmac_f32 v19, v47, v42 :: v_dual_mul_f32 v42, v48, v45
	v_dual_add_f32 v9, v9, v29 :: v_dual_fma_f32 v29, v48, v44, -v35
	ds_load_b128 v[34:37], v22 offset:112
	ds_load_2addr_b64 v[38:41], v26 offset0:192 offset1:224
	v_dual_add_f32 v18, v18, v19 :: v_dual_fmac_f32 v42, v49, v44
	s_wait_dscnt 0x2
	v_dual_mul_f32 v43, v31, v15 :: v_dual_add_f32 v9, v9, v29
	s_delay_alu instid0(VALU_DEP_1) | instskip(NEXT) | instid1(VALU_DEP_3)
	v_dual_mul_f32 v15, v30, v15 :: v_dual_fma_f32 v19, v30, v14, -v43
	v_add_f32_e32 v18, v18, v42
	s_delay_alu instid0(VALU_DEP_2)
	v_dual_fmac_f32 v15, v31, v14 :: v_dual_mul_f32 v14, v33, v17
	ds_load_b128 v[42:45], v22 offset:128
	ds_load_2addr_b64 v[46:49], v27 offset1:32
	v_dual_add_f32 v9, v9, v19 :: v_dual_mul_f32 v17, v32, v17
	v_dual_add_f32 v15, v18, v15 :: v_dual_fma_f32 v14, v32, v16, -v14
	s_wait_dscnt 0x2
	s_delay_alu instid0(VALU_DEP_2) | instskip(NEXT) | instid1(VALU_DEP_2)
	v_dual_fmac_f32 v17, v33, v16 :: v_dual_mul_f32 v16, v39, v35
	v_dual_mul_f32 v18, v38, v35 :: v_dual_add_f32 v9, v9, v14
	v_mul_f32_e32 v35, v40, v37
	s_delay_alu instid0(VALU_DEP_3) | instskip(NEXT) | instid1(VALU_DEP_3)
	v_dual_add_f32 v19, v15, v17 :: v_dual_fma_f32 v29, v38, v34, -v16
	v_fmac_f32_e32 v18, v39, v34
	ds_load_b128 v[14:17], v22 offset:144
	ds_load_2addr_b64 v[30:33], v27 offset0:64 offset1:96
	v_dual_mul_f32 v34, v41, v37 :: v_dual_fmac_f32 v35, v41, v36
	v_dual_add_f32 v9, v9, v29 :: v_dual_add_f32 v18, v19, v18
	s_wait_dscnt 0x2
	v_dual_mul_f32 v29, v47, v43 :: v_dual_mul_f32 v43, v46, v43
	s_delay_alu instid0(VALU_DEP_2) | instskip(SKIP_4) | instid1(VALU_DEP_1)
	v_dual_fma_f32 v19, v40, v36, -v34 :: v_dual_add_f32 v18, v18, v35
	ds_load_b128 v[34:37], v22 offset:160
	ds_load_2addr_b64 v[38:41], v27 offset0:128 offset1:160
	v_dual_fmac_f32 v43, v47, v42 :: v_dual_add_f32 v9, v9, v19
	v_dual_fma_f32 v19, v46, v42, -v29 :: v_dual_mul_f32 v29, v49, v45
	v_dual_mul_f32 v42, v48, v45 :: v_dual_add_f32 v9, v9, v19
	s_wait_dscnt 0x2
	s_delay_alu instid0(VALU_DEP_2) | instskip(NEXT) | instid1(VALU_DEP_2)
	v_dual_fma_f32 v19, v48, v44, -v29 :: v_dual_mul_f32 v29, v31, v15
	v_dual_fmac_f32 v42, v49, v44 :: v_dual_mul_f32 v15, v30, v15
	s_delay_alu instid0(VALU_DEP_2) | instskip(NEXT) | instid1(VALU_DEP_2)
	v_dual_add_f32 v9, v9, v19 :: v_dual_fma_f32 v19, v30, v14, -v29
	v_dual_add_f32 v18, v18, v43 :: v_dual_fmac_f32 v15, v31, v14
	v_dual_mul_f32 v14, v33, v17 :: v_dual_mul_f32 v17, v32, v17
	s_delay_alu instid0(VALU_DEP_2)
	v_add_f32_e32 v18, v18, v42
	ds_load_b128 v[42:45], v22 offset:176
	ds_load_2addr_b64 v[46:49], v27 offset0:192 offset1:224
	v_dual_add_f32 v9, v9, v19 :: v_dual_fma_f32 v14, v32, v16, -v14
	s_wait_dscnt 0x2
	v_dual_mul_f32 v19, v39, v35 :: v_dual_fmac_f32 v17, v33, v16
	v_add_f32_e32 v15, v18, v15
	s_delay_alu instid0(VALU_DEP_3) | instskip(NEXT) | instid1(VALU_DEP_3)
	v_dual_mul_f32 v18, v38, v35 :: v_dual_add_f32 v9, v9, v14
	v_dual_fma_f32 v14, v38, v34, -v19 :: v_dual_mul_f32 v16, v41, v37
	s_delay_alu instid0(VALU_DEP_3) | instskip(NEXT) | instid1(VALU_DEP_3)
	v_add_f32_e32 v19, v15, v17
	v_dual_fmac_f32 v18, v39, v34 :: v_dual_mul_f32 v34, v40, v37
	s_delay_alu instid0(VALU_DEP_3)
	v_dual_add_f32 v9, v9, v14 :: v_dual_fma_f32 v29, v40, v36, -v16
	ds_load_b128 v[14:17], v22 offset:192
	ds_load_2addr_b64 v[30:33], v28 offset1:32
	v_dual_add_f32 v18, v19, v18 :: v_dual_fmac_f32 v34, v41, v36
	s_wait_dscnt 0x2
	v_dual_add_f32 v9, v9, v29 :: v_dual_mul_f32 v35, v47, v43
	s_delay_alu instid0(VALU_DEP_1) | instskip(NEXT) | instid1(VALU_DEP_3)
	v_dual_mul_f32 v19, v46, v43 :: v_dual_fma_f32 v29, v46, v42, -v35
	v_add_f32_e32 v18, v18, v34
	ds_load_b128 v[34:37], v22 offset:208
	ds_load_2addr_b64 v[38:41], v28 offset0:64 offset1:96
	v_dual_fmac_f32 v19, v47, v42 :: v_dual_add_f32 v9, v9, v29
	v_dual_mul_f32 v29, v49, v45 :: v_dual_mul_f32 v42, v48, v45
	s_delay_alu instid0(VALU_DEP_1) | instskip(SKIP_1) | instid1(VALU_DEP_2)
	v_dual_add_f32 v18, v18, v19 :: v_dual_fma_f32 v19, v48, v44, -v29
	s_wait_dscnt 0x2
	v_dual_fmac_f32 v42, v49, v44 :: v_dual_mul_f32 v29, v31, v15
	v_mul_f32_e32 v15, v30, v15
	s_delay_alu instid0(VALU_DEP_2) | instskip(NEXT) | instid1(VALU_DEP_2)
	v_dual_add_f32 v9, v9, v19 :: v_dual_add_f32 v18, v18, v42
	v_dual_fma_f32 v19, v30, v14, -v29 :: v_dual_fmac_f32 v15, v31, v14
	v_dual_mul_f32 v14, v33, v17 :: v_dual_mul_f32 v17, v32, v17
	ds_load_b128 v[42:45], v22 offset:224
	ds_load_2addr_b64 v[46:49], v28 offset0:128 offset1:160
	v_add_f32_e32 v9, v9, v19
	v_dual_add_f32 v15, v18, v15 :: v_dual_fma_f32 v14, v32, v16, -v14
	s_wait_dscnt 0x2
	v_dual_fmac_f32 v17, v33, v16 :: v_dual_mul_f32 v18, v38, v35
	s_delay_alu instid0(VALU_DEP_2) | instskip(NEXT) | instid1(VALU_DEP_2)
	v_dual_add_f32 v9, v9, v14 :: v_dual_mul_f32 v29, v39, v35
	v_fmac_f32_e32 v18, v39, v34
	s_delay_alu instid0(VALU_DEP_3)
	v_add_f32_e32 v19, v15, v17
	ds_load_b128 v[14:17], v22 offset:240
	ds_load_2addr_b64 v[30:33], v28 offset0:192 offset1:224
	v_dual_fma_f32 v29, v38, v34, -v29 :: v_dual_mul_f32 v35, v40, v37
	v_dual_add_f32 v18, v19, v18 :: v_dual_mul_f32 v19, v41, v37
	s_wait_dscnt 0x2
	s_delay_alu instid0(VALU_DEP_2) | instskip(NEXT) | instid1(VALU_DEP_3)
	v_dual_add_f32 v9, v9, v29 :: v_dual_mul_f32 v34, v46, v43
	v_fmac_f32_e32 v35, v41, v36
	s_delay_alu instid0(VALU_DEP_3) | instskip(NEXT) | instid1(VALU_DEP_2)
	v_dual_fma_f32 v19, v40, v36, -v19 :: v_dual_mul_f32 v29, v47, v43
	v_dual_fmac_f32 v34, v47, v42 :: v_dual_add_f32 v18, v18, v35
	s_delay_alu instid0(VALU_DEP_2) | instskip(NEXT) | instid1(VALU_DEP_3)
	v_dual_mul_f32 v35, v48, v45 :: v_dual_add_f32 v9, v9, v19
	v_dual_fma_f32 v19, v46, v42, -v29 :: v_dual_mul_f32 v29, v49, v45
	s_delay_alu instid0(VALU_DEP_2) | instskip(SKIP_2) | instid1(VALU_DEP_3)
	v_dual_add_f32 v18, v18, v34 :: v_dual_fmac_f32 v35, v49, v44
	s_wait_dscnt 0x0
	v_mul_f32_e32 v34, v30, v15
	v_dual_add_f32 v9, v9, v19 :: v_dual_fma_f32 v19, v48, v44, -v29
	v_mul_f32_e32 v15, v31, v15
	v_dual_add_f32 v18, v18, v35 :: v_dual_mul_f32 v29, v32, v17
	s_delay_alu instid0(VALU_DEP_4) | instskip(NEXT) | instid1(VALU_DEP_3)
	v_dual_fmac_f32 v34, v31, v14 :: v_dual_mul_f32 v17, v33, v17
	v_dual_add_f32 v9, v9, v19 :: v_dual_fma_f32 v14, v30, v14, -v15
	s_delay_alu instid0(VALU_DEP_2) | instskip(NEXT) | instid1(VALU_DEP_3)
	v_dual_fmac_f32 v29, v33, v16 :: v_dual_add_f32 v15, v18, v34
	v_fma_f32 v18, v32, v16, -v17
	v_mov_b64_e32 v[16:17], s[4:5]
	s_delay_alu instid0(VALU_DEP_3) | instskip(NEXT) | instid1(VALU_DEP_1)
	v_dual_add_f32 v9, v9, v14 :: v_dual_add_f32 v14, v15, v29
	v_add_f32_e32 v18, v9, v18
	s_delay_alu instid0(VALU_DEP_2) | instskip(SKIP_1) | instid1(VALU_DEP_1)
	v_pk_mul_f32 v[14:15], v[16:17], v[14:15] op_sel_hi:[1,0]
	v_mov_b64_e32 v[16:17], s[20:21]
	v_pk_fma_f32 v[30:31], v[16:17], v[18:19], v[14:15] op_sel_hi:[1,0,1]
	v_pk_fma_f32 v[14:15], v[16:17], v[18:19], v[14:15] neg_lo:[0,0,1] neg_hi:[0,0,1]
	s_delay_alu instid0(VALU_DEP_2) | instskip(SKIP_1) | instid1(VALU_DEP_1)
	v_mov_b32_e32 v15, v31
	s_wait_loadcnt 0x0
	v_pk_add_f32 v[12:13], v[12:13], v[14:15]
	flat_store_b64 v[10:11], v[12:13]
	s_branch .LBB49_9
.LBB49_16:
	s_endpgm
	.section	.rodata,"a",@progbits
	.p2align	6, 0x0
	.amdhsa_kernel _ZL24rocblas_symm_hemm_kernelILb0ELb1ELi32E19rocblas_complex_numIfEPKPKS1_PKPS1_EvbiiT2_T3_lllSA_lllT4_llli
		.amdhsa_group_segment_fixed_size 16384
		.amdhsa_private_segment_fixed_size 0
		.amdhsa_kernarg_size 384
		.amdhsa_user_sgpr_count 2
		.amdhsa_user_sgpr_dispatch_ptr 0
		.amdhsa_user_sgpr_queue_ptr 0
		.amdhsa_user_sgpr_kernarg_segment_ptr 1
		.amdhsa_user_sgpr_dispatch_id 0
		.amdhsa_user_sgpr_kernarg_preload_length 0
		.amdhsa_user_sgpr_kernarg_preload_offset 0
		.amdhsa_user_sgpr_private_segment_size 0
		.amdhsa_wavefront_size32 1
		.amdhsa_uses_dynamic_stack 0
		.amdhsa_enable_private_segment 0
		.amdhsa_system_sgpr_workgroup_id_x 1
		.amdhsa_system_sgpr_workgroup_id_y 1
		.amdhsa_system_sgpr_workgroup_id_z 1
		.amdhsa_system_sgpr_workgroup_info 0
		.amdhsa_system_vgpr_workitem_id 1
		.amdhsa_next_free_vgpr 50
		.amdhsa_next_free_sgpr 40
		.amdhsa_named_barrier_count 0
		.amdhsa_reserve_vcc 1
		.amdhsa_float_round_mode_32 0
		.amdhsa_float_round_mode_16_64 0
		.amdhsa_float_denorm_mode_32 3
		.amdhsa_float_denorm_mode_16_64 3
		.amdhsa_fp16_overflow 0
		.amdhsa_memory_ordered 1
		.amdhsa_forward_progress 1
		.amdhsa_inst_pref_size 19
		.amdhsa_round_robin_scheduling 0
		.amdhsa_exception_fp_ieee_invalid_op 0
		.amdhsa_exception_fp_denorm_src 0
		.amdhsa_exception_fp_ieee_div_zero 0
		.amdhsa_exception_fp_ieee_overflow 0
		.amdhsa_exception_fp_ieee_underflow 0
		.amdhsa_exception_fp_ieee_inexact 0
		.amdhsa_exception_int_div_zero 0
	.end_amdhsa_kernel
	.section	.text._ZL24rocblas_symm_hemm_kernelILb0ELb1ELi32E19rocblas_complex_numIfEPKPKS1_PKPS1_EvbiiT2_T3_lllSA_lllT4_llli,"axG",@progbits,_ZL24rocblas_symm_hemm_kernelILb0ELb1ELi32E19rocblas_complex_numIfEPKPKS1_PKPS1_EvbiiT2_T3_lllSA_lllT4_llli,comdat
.Lfunc_end49:
	.size	_ZL24rocblas_symm_hemm_kernelILb0ELb1ELi32E19rocblas_complex_numIfEPKPKS1_PKPS1_EvbiiT2_T3_lllSA_lllT4_llli, .Lfunc_end49-_ZL24rocblas_symm_hemm_kernelILb0ELb1ELi32E19rocblas_complex_numIfEPKPKS1_PKPS1_EvbiiT2_T3_lllSA_lllT4_llli
                                        ; -- End function
	.set _ZL24rocblas_symm_hemm_kernelILb0ELb1ELi32E19rocblas_complex_numIfEPKPKS1_PKPS1_EvbiiT2_T3_lllSA_lllT4_llli.num_vgpr, 50
	.set _ZL24rocblas_symm_hemm_kernelILb0ELb1ELi32E19rocblas_complex_numIfEPKPKS1_PKPS1_EvbiiT2_T3_lllSA_lllT4_llli.num_agpr, 0
	.set _ZL24rocblas_symm_hemm_kernelILb0ELb1ELi32E19rocblas_complex_numIfEPKPKS1_PKPS1_EvbiiT2_T3_lllSA_lllT4_llli.numbered_sgpr, 40
	.set _ZL24rocblas_symm_hemm_kernelILb0ELb1ELi32E19rocblas_complex_numIfEPKPKS1_PKPS1_EvbiiT2_T3_lllSA_lllT4_llli.num_named_barrier, 0
	.set _ZL24rocblas_symm_hemm_kernelILb0ELb1ELi32E19rocblas_complex_numIfEPKPKS1_PKPS1_EvbiiT2_T3_lllSA_lllT4_llli.private_seg_size, 0
	.set _ZL24rocblas_symm_hemm_kernelILb0ELb1ELi32E19rocblas_complex_numIfEPKPKS1_PKPS1_EvbiiT2_T3_lllSA_lllT4_llli.uses_vcc, 1
	.set _ZL24rocblas_symm_hemm_kernelILb0ELb1ELi32E19rocblas_complex_numIfEPKPKS1_PKPS1_EvbiiT2_T3_lllSA_lllT4_llli.uses_flat_scratch, 0
	.set _ZL24rocblas_symm_hemm_kernelILb0ELb1ELi32E19rocblas_complex_numIfEPKPKS1_PKPS1_EvbiiT2_T3_lllSA_lllT4_llli.has_dyn_sized_stack, 0
	.set _ZL24rocblas_symm_hemm_kernelILb0ELb1ELi32E19rocblas_complex_numIfEPKPKS1_PKPS1_EvbiiT2_T3_lllSA_lllT4_llli.has_recursion, 0
	.set _ZL24rocblas_symm_hemm_kernelILb0ELb1ELi32E19rocblas_complex_numIfEPKPKS1_PKPS1_EvbiiT2_T3_lllSA_lllT4_llli.has_indirect_call, 0
	.section	.AMDGPU.csdata,"",@progbits
; Kernel info:
; codeLenInByte = 2428
; TotalNumSgprs: 42
; NumVgprs: 50
; ScratchSize: 0
; MemoryBound: 0
; FloatMode: 240
; IeeeMode: 1
; LDSByteSize: 16384 bytes/workgroup (compile time only)
; SGPRBlocks: 0
; VGPRBlocks: 3
; NumSGPRsForWavesPerEU: 42
; NumVGPRsForWavesPerEU: 50
; NamedBarCnt: 0
; Occupancy: 16
; WaveLimiterHint : 1
; COMPUTE_PGM_RSRC2:SCRATCH_EN: 0
; COMPUTE_PGM_RSRC2:USER_SGPR: 2
; COMPUTE_PGM_RSRC2:TRAP_HANDLER: 0
; COMPUTE_PGM_RSRC2:TGID_X_EN: 1
; COMPUTE_PGM_RSRC2:TGID_Y_EN: 1
; COMPUTE_PGM_RSRC2:TGID_Z_EN: 1
; COMPUTE_PGM_RSRC2:TIDIG_COMP_CNT: 1
	.section	.text._ZL25rocblas_symm_scale_kernelILi128ELi8EPK19rocblas_complex_numIdEPKPS1_EviiT1_T2_llli,"axG",@progbits,_ZL25rocblas_symm_scale_kernelILi128ELi8EPK19rocblas_complex_numIdEPKPS1_EviiT1_T2_llli,comdat
	.globl	_ZL25rocblas_symm_scale_kernelILi128ELi8EPK19rocblas_complex_numIdEPKPS1_EviiT1_T2_llli ; -- Begin function _ZL25rocblas_symm_scale_kernelILi128ELi8EPK19rocblas_complex_numIdEPKPS1_EviiT1_T2_llli
	.p2align	8
	.type	_ZL25rocblas_symm_scale_kernelILi128ELi8EPK19rocblas_complex_numIdEPKPS1_EviiT1_T2_llli,@function
_ZL25rocblas_symm_scale_kernelILi128ELi8EPK19rocblas_complex_numIdEPKPS1_EviiT1_T2_llli: ; @_ZL25rocblas_symm_scale_kernelILi128ELi8EPK19rocblas_complex_numIdEPKPS1_EviiT1_T2_llli
; %bb.0:
	s_load_b256 s[4:11], s[0:1], 0x8
	s_wait_kmcnt 0x0
	s_load_b128 s[12:15], s[4:5], 0x0
	s_wait_kmcnt 0x0
	v_cmp_eq_f64_e64 s2, s[12:13], 1.0
	v_cmp_eq_f64_e64 s3, s[14:15], 0
	s_and_b32 s2, s2, s3
	s_delay_alu instid0(SALU_CYCLE_1)
	s_and_b32 vcc_lo, exec_lo, s2
	s_cbranch_vccnz .LBB50_9
; %bb.1:
	s_load_b32 s16, s[0:1], 0x30
	s_bfe_u32 s2, ttmp6, 0x40014
	s_lshr_b32 s3, ttmp7, 16
	s_add_co_i32 s2, s2, 1
	s_bfe_u32 s5, ttmp6, 0x40008
	s_mul_i32 s4, s3, s2
	s_getreg_b32 s2, hwreg(HW_REG_IB_STS2, 6, 4)
	s_add_co_i32 s5, s5, s4
	s_cmp_eq_u32 s2, 0
	s_cselect_b32 s17, s3, s5
	s_mov_b32 s3, 0
	s_wait_kmcnt 0x0
	s_cmp_ge_u32 s17, s16
	s_cbranch_scc1 .LBB50_9
; %bb.2:
	s_bfe_u32 s4, ttmp6, 0x40010
	s_bfe_u32 s18, ttmp6, 0x4000c
	s_and_b32 s5, ttmp7, 0xffff
	s_add_co_i32 s4, s4, 1
	s_add_co_i32 s18, s18, 1
	s_mul_i32 s4, s5, s4
	s_bfe_u32 s19, ttmp6, 0x40004
	s_and_b32 s20, ttmp6, 15
	s_mul_i32 s18, ttmp9, s18
	s_add_co_i32 s19, s19, s4
	s_add_co_i32 s20, s20, s18
	v_bfe_u32 v1, v0, 10, 10
	s_cmp_eq_u32 s2, 0
	v_mov_b32_e32 v5, 0
	s_cselect_b32 s2, s5, s19
	v_cmp_neq_f64_e64 s21, s[12:13], 0
	v_lshl_add_u32 v4, s2, 3, v1
	v_cmp_neq_f64_e64 s22, s[14:15], 0
	s_load_b64 s[18:19], s[0:1], 0x0
	v_and_b32_e32 v0, 0x3ff, v0
	s_cselect_b32 s2, ttmp9, s20
	v_mul_u64_e32 v[2:3], s[10:11], v[4:5]
	s_lshl_b64 s[4:5], s[8:9], 4
	v_mov_b32_e32 v1, v5
	v_lshl_add_u32 v0, s2, 7, v0
	s_wait_xcnt 0x0
	s_add_nc_u64 s[0:1], s[0:1], 56
	s_lshl_b64 s[8:9], s[10:11], 4
	s_wait_kmcnt 0x0
	v_cmp_gt_u32_e64 s2, s18, v0
	s_or_b32 s18, s21, s22
	v_lshl_add_u64 v[2:3], v[2:3], 4, s[4:5]
	s_ashr_i32 s5, s19, 31
	s_mov_b32 s4, s19
	s_delay_alu instid0(VALU_DEP_1) | instskip(NEXT) | instid1(VALU_DEP_1)
	v_lshl_add_u64 v[6:7], v[0:1], 4, v[2:3]
	v_or_b32_e32 v6, 8, v6
	v_cmp_gt_i64_e32 vcc_lo, s[4:5], v[4:5]
	s_and_b32 s19, s2, vcc_lo
	s_branch .LBB50_4
.LBB50_3:                               ;   in Loop: Header=BB50_4 Depth=1
	s_or_b32 exec_lo, exec_lo, s20
	s_add_co_i32 s17, s17, 0x10000
	s_delay_alu instid0(SALU_CYCLE_1)
	s_cmp_lt_u32 s17, s16
	s_cbranch_scc0 .LBB50_9
.LBB50_4:                               ; =>This Loop Header: Depth=1
                                        ;     Child Loop BB50_7 Depth 2
	s_and_saveexec_b32 s20, s19
	s_cbranch_execz .LBB50_3
; %bb.5:                                ;   in Loop: Header=BB50_4 Depth=1
	s_load_b64 s[10:11], s[6:7], s17 offset:0x0 scale_offset
	s_load_b32 s2, s[0:1], 0x4
	v_mov_b64_e32 v[10:11], v[4:5]
	s_mov_b32 s21, 0
	s_wait_kmcnt 0x0
	v_add_nc_u64_e32 v[8:9], s[10:11], v[6:7]
	s_lshl_b32 s2, s2, 3
	s_delay_alu instid0(SALU_CYCLE_1)
	s_mul_u64 s[10:11], s[8:9], s[2:3]
	s_branch .LBB50_7
.LBB50_6:                               ;   in Loop: Header=BB50_7 Depth=2
	v_add_nc_u64_e32 v[10:11], s[2:3], v[10:11]
	flat_store_b128 v[8:9], v[0:3] offset:-8
	s_wait_xcnt 0x0
	v_add_nc_u64_e32 v[8:9], s[10:11], v[8:9]
	v_cmp_le_i64_e32 vcc_lo, s[4:5], v[10:11]
	s_or_b32 s21, vcc_lo, s21
	s_delay_alu instid0(SALU_CYCLE_1)
	s_and_not1_b32 exec_lo, exec_lo, s21
	s_cbranch_execz .LBB50_3
.LBB50_7:                               ;   Parent Loop BB50_4 Depth=1
                                        ; =>  This Inner Loop Header: Depth=2
	v_mov_b64_e32 v[2:3], 0
	v_mov_b64_e32 v[0:1], 0
	s_and_not1_b32 vcc_lo, exec_lo, s18
	s_cbranch_vccnz .LBB50_6
; %bb.8:                                ;   in Loop: Header=BB50_7 Depth=2
	flat_load_b128 v[12:15], v[8:9] offset:-8
	s_wait_loadcnt_dscnt 0x0
	v_mul_f64_e32 v[0:1], s[14:15], v[14:15]
	v_mul_f64_e32 v[2:3], s[12:13], v[14:15]
	s_delay_alu instid0(VALU_DEP_2) | instskip(NEXT) | instid1(VALU_DEP_2)
	v_fma_f64 v[0:1], s[12:13], v[12:13], -v[0:1]
	v_fmac_f64_e32 v[2:3], s[14:15], v[12:13]
	s_branch .LBB50_6
.LBB50_9:
	s_endpgm
	.section	.rodata,"a",@progbits
	.p2align	6, 0x0
	.amdhsa_kernel _ZL25rocblas_symm_scale_kernelILi128ELi8EPK19rocblas_complex_numIdEPKPS1_EviiT1_T2_llli
		.amdhsa_group_segment_fixed_size 0
		.amdhsa_private_segment_fixed_size 0
		.amdhsa_kernarg_size 312
		.amdhsa_user_sgpr_count 2
		.amdhsa_user_sgpr_dispatch_ptr 0
		.amdhsa_user_sgpr_queue_ptr 0
		.amdhsa_user_sgpr_kernarg_segment_ptr 1
		.amdhsa_user_sgpr_dispatch_id 0
		.amdhsa_user_sgpr_kernarg_preload_length 0
		.amdhsa_user_sgpr_kernarg_preload_offset 0
		.amdhsa_user_sgpr_private_segment_size 0
		.amdhsa_wavefront_size32 1
		.amdhsa_uses_dynamic_stack 0
		.amdhsa_enable_private_segment 0
		.amdhsa_system_sgpr_workgroup_id_x 1
		.amdhsa_system_sgpr_workgroup_id_y 1
		.amdhsa_system_sgpr_workgroup_id_z 1
		.amdhsa_system_sgpr_workgroup_info 0
		.amdhsa_system_vgpr_workitem_id 1
		.amdhsa_next_free_vgpr 16
		.amdhsa_next_free_sgpr 23
		.amdhsa_named_barrier_count 0
		.amdhsa_reserve_vcc 1
		.amdhsa_float_round_mode_32 0
		.amdhsa_float_round_mode_16_64 0
		.amdhsa_float_denorm_mode_32 3
		.amdhsa_float_denorm_mode_16_64 3
		.amdhsa_fp16_overflow 0
		.amdhsa_memory_ordered 1
		.amdhsa_forward_progress 1
		.amdhsa_inst_pref_size 5
		.amdhsa_round_robin_scheduling 0
		.amdhsa_exception_fp_ieee_invalid_op 0
		.amdhsa_exception_fp_denorm_src 0
		.amdhsa_exception_fp_ieee_div_zero 0
		.amdhsa_exception_fp_ieee_overflow 0
		.amdhsa_exception_fp_ieee_underflow 0
		.amdhsa_exception_fp_ieee_inexact 0
		.amdhsa_exception_int_div_zero 0
	.end_amdhsa_kernel
	.section	.text._ZL25rocblas_symm_scale_kernelILi128ELi8EPK19rocblas_complex_numIdEPKPS1_EviiT1_T2_llli,"axG",@progbits,_ZL25rocblas_symm_scale_kernelILi128ELi8EPK19rocblas_complex_numIdEPKPS1_EviiT1_T2_llli,comdat
.Lfunc_end50:
	.size	_ZL25rocblas_symm_scale_kernelILi128ELi8EPK19rocblas_complex_numIdEPKPS1_EviiT1_T2_llli, .Lfunc_end50-_ZL25rocblas_symm_scale_kernelILi128ELi8EPK19rocblas_complex_numIdEPKPS1_EviiT1_T2_llli
                                        ; -- End function
	.set _ZL25rocblas_symm_scale_kernelILi128ELi8EPK19rocblas_complex_numIdEPKPS1_EviiT1_T2_llli.num_vgpr, 16
	.set _ZL25rocblas_symm_scale_kernelILi128ELi8EPK19rocblas_complex_numIdEPKPS1_EviiT1_T2_llli.num_agpr, 0
	.set _ZL25rocblas_symm_scale_kernelILi128ELi8EPK19rocblas_complex_numIdEPKPS1_EviiT1_T2_llli.numbered_sgpr, 23
	.set _ZL25rocblas_symm_scale_kernelILi128ELi8EPK19rocblas_complex_numIdEPKPS1_EviiT1_T2_llli.num_named_barrier, 0
	.set _ZL25rocblas_symm_scale_kernelILi128ELi8EPK19rocblas_complex_numIdEPKPS1_EviiT1_T2_llli.private_seg_size, 0
	.set _ZL25rocblas_symm_scale_kernelILi128ELi8EPK19rocblas_complex_numIdEPKPS1_EviiT1_T2_llli.uses_vcc, 1
	.set _ZL25rocblas_symm_scale_kernelILi128ELi8EPK19rocblas_complex_numIdEPKPS1_EviiT1_T2_llli.uses_flat_scratch, 0
	.set _ZL25rocblas_symm_scale_kernelILi128ELi8EPK19rocblas_complex_numIdEPKPS1_EviiT1_T2_llli.has_dyn_sized_stack, 0
	.set _ZL25rocblas_symm_scale_kernelILi128ELi8EPK19rocblas_complex_numIdEPKPS1_EviiT1_T2_llli.has_recursion, 0
	.set _ZL25rocblas_symm_scale_kernelILi128ELi8EPK19rocblas_complex_numIdEPKPS1_EviiT1_T2_llli.has_indirect_call, 0
	.section	.AMDGPU.csdata,"",@progbits
; Kernel info:
; codeLenInByte = 528
; TotalNumSgprs: 25
; NumVgprs: 16
; ScratchSize: 0
; MemoryBound: 0
; FloatMode: 240
; IeeeMode: 1
; LDSByteSize: 0 bytes/workgroup (compile time only)
; SGPRBlocks: 0
; VGPRBlocks: 0
; NumSGPRsForWavesPerEU: 25
; NumVGPRsForWavesPerEU: 16
; NamedBarCnt: 0
; Occupancy: 16
; WaveLimiterHint : 0
; COMPUTE_PGM_RSRC2:SCRATCH_EN: 0
; COMPUTE_PGM_RSRC2:USER_SGPR: 2
; COMPUTE_PGM_RSRC2:TRAP_HANDLER: 0
; COMPUTE_PGM_RSRC2:TGID_X_EN: 1
; COMPUTE_PGM_RSRC2:TGID_Y_EN: 1
; COMPUTE_PGM_RSRC2:TGID_Z_EN: 1
; COMPUTE_PGM_RSRC2:TIDIG_COMP_CNT: 1
	.section	.text._ZL24rocblas_symm_hemm_kernelILb0ELb0ELi32EPK19rocblas_complex_numIdEPKS3_PKPS1_EvbiiT2_T3_lllSA_lllT4_llli,"axG",@progbits,_ZL24rocblas_symm_hemm_kernelILb0ELb0ELi32EPK19rocblas_complex_numIdEPKS3_PKPS1_EvbiiT2_T3_lllSA_lllT4_llli,comdat
	.globl	_ZL24rocblas_symm_hemm_kernelILb0ELb0ELi32EPK19rocblas_complex_numIdEPKS3_PKPS1_EvbiiT2_T3_lllSA_lllT4_llli ; -- Begin function _ZL24rocblas_symm_hemm_kernelILb0ELb0ELi32EPK19rocblas_complex_numIdEPKS3_PKPS1_EvbiiT2_T3_lllSA_lllT4_llli
	.p2align	8
	.type	_ZL24rocblas_symm_hemm_kernelILb0ELb0ELi32EPK19rocblas_complex_numIdEPKS3_PKPS1_EvbiiT2_T3_lllSA_lllT4_llli,@function
_ZL24rocblas_symm_hemm_kernelILb0ELb0ELi32EPK19rocblas_complex_numIdEPKS3_PKPS1_EvbiiT2_T3_lllSA_lllT4_llli: ; @_ZL24rocblas_symm_hemm_kernelILb0ELb0ELi32EPK19rocblas_complex_numIdEPKS3_PKPS1_EvbiiT2_T3_lllSA_lllT4_llli
; %bb.0:
	s_load_b256 s[4:11], s[0:1], 0x10
	s_wait_kmcnt 0x0
	s_load_b128 s[12:15], s[4:5], 0x0
	s_wait_kmcnt 0x0
	v_cmp_eq_f64_e64 s2, s[12:13], 0
	v_cmp_eq_f64_e64 s3, s[14:15], 0
	s_and_b32 s2, s2, s3
	s_delay_alu instid0(SALU_CYCLE_1)
	s_and_b32 vcc_lo, exec_lo, s2
	s_cbranch_vccnz .LBB51_18
; %bb.1:
	s_load_b32 s3, s[0:1], 0x78
	s_bfe_u32 s2, ttmp6, 0x40014
	s_lshr_b32 s4, ttmp7, 16
	s_add_co_i32 s2, s2, 1
	s_bfe_u32 s16, ttmp6, 0x40008
	s_mul_i32 s5, s4, s2
	s_getreg_b32 s2, hwreg(HW_REG_IB_STS2, 6, 4)
	s_add_co_i32 s16, s16, s5
	s_cmp_eq_u32 s2, 0
	s_cselect_b32 s27, s4, s16
	s_wait_kmcnt 0x0
	s_cmp_ge_u32 s27, s3
	s_cbranch_scc1 .LBB51_18
; %bb.2:
	s_clause 0x4
	s_load_b96 s[24:26], s[0:1], 0x0
	s_load_b128 s[16:19], s[0:1], 0x38
	s_load_b64 s[4:5], s[0:1], 0x68
	s_load_b64 s[28:29], s[0:1], 0x48
	s_load_b128 s[20:23], s[0:1], 0x58
	s_add_nc_u64 s[30:31], s[0:1], 0x80
	v_and_b32_e32 v18, 0x3ff, v0
	v_bfe_u32 v19, v0, 10, 10
	s_delay_alu instid0(VALU_DEP_1) | instskip(NEXT) | instid1(VALU_DEP_1)
	v_dual_lshlrev_b32 v20, 9, v18 :: v_dual_lshlrev_b32 v0, 4, v19
	v_or_b32_e32 v22, 0x4000, v0
	s_delay_alu instid0(VALU_DEP_2) | instskip(NEXT) | instid1(VALU_DEP_2)
	v_add_nc_u32_e32 v21, v20, v0
	v_add_nc_u32_e32 v23, v22, v20
	s_wait_kmcnt 0x0
	s_bitcmp1_b32 s24, 0
	s_cselect_b32 s0, -1, 0
	s_add_co_i32 s1, s26, -1
	s_bfe_u32 s33, ttmp6, 0x4000c
	s_bfe_u32 s35, ttmp6, 0x40010
	s_ashr_i32 s37, s1, 31
	s_and_b32 s34, ttmp7, 0xffff
	s_add_co_i32 s33, s33, 1
	s_add_co_i32 s35, s35, 1
	s_lshr_b32 s37, s37, 27
	s_and_b32 s24, ttmp6, 15
	s_bfe_u32 s36, ttmp6, 0x40004
	s_mul_i32 s33, ttmp9, s33
	s_mul_i32 s35, s34, s35
	s_add_co_i32 s1, s1, s37
	s_add_co_i32 s37, s24, s33
	;; [unrolled: 1-line block ×3, first 2 shown]
	s_ashr_i32 s24, s1, 5
	s_cmp_eq_u32 s2, 0
	s_cselect_b32 s1, ttmp9, s37
	s_cselect_b32 s33, s34, s36
	v_lshl_add_u32 v8, s1, 5, v18
	s_cmp_le_i32 s33, s24
	s_cselect_b32 s38, -1, 0
	s_cmp_gt_i32 s25, 0
	s_delay_alu instid0(VALU_DEP_1)
	v_cmp_gt_i32_e64 s1, s25, v8
	v_ashrrev_i32_e32 v9, 31, v8
	s_cselect_b32 s39, -1, 0
	s_lshl_b64 s[8:9], s[8:9], 4
	s_lshl_b64 s[18:19], s[18:19], 4
	;; [unrolled: 1-line block ×3, first 2 shown]
	s_branch .LBB51_4
.LBB51_3:                               ;   in Loop: Header=BB51_4 Depth=1
	s_add_co_i32 s27, s27, 0x10000
	s_delay_alu instid0(SALU_CYCLE_1)
	s_cmp_lt_u32 s27, s3
	s_cbranch_scc0 .LBB51_18
.LBB51_4:                               ; =>This Loop Header: Depth=1
                                        ;     Child Loop BB51_7 Depth 2
                                        ;       Child Loop BB51_10 Depth 3
                                        ;         Child Loop BB51_16 Depth 4
	s_and_not1_b32 vcc_lo, exec_lo, s38
	s_cbranch_vccnz .LBB51_3
; %bb.5:                                ;   in Loop: Header=BB51_4 Depth=1
	s_load_b64 s[34:35], s[20:21], s27 offset:0x0 scale_offset
	s_load_b64 s[36:37], s[6:7], s27 offset:0x0 scale_offset
	;; [unrolled: 1-line block ×3, first 2 shown]
	s_load_b32 s40, s[30:31], 0x4
	s_mov_b32 s41, s33
	s_wait_kmcnt 0x0
	s_add_nc_u64 s[34:35], s[34:35], s[22:23]
	s_delay_alu instid0(SALU_CYCLE_1)
	v_lshl_add_u64 v[10:11], v[8:9], 4, s[34:35]
	s_add_nc_u64 s[34:35], s[36:37], s[8:9]
	s_add_nc_u64 s[36:37], s[42:43], s[18:19]
	s_branch .LBB51_7
.LBB51_6:                               ;   in Loop: Header=BB51_7 Depth=2
	s_add_co_i32 s41, s41, s40
	s_delay_alu instid0(SALU_CYCLE_1)
	s_cmp_gt_i32 s41, s24
	s_cbranch_scc1 .LBB51_3
.LBB51_7:                               ;   Parent Loop BB51_4 Depth=1
                                        ; =>  This Loop Header: Depth=2
                                        ;       Child Loop BB51_10 Depth 3
                                        ;         Child Loop BB51_16 Depth 4
	s_and_not1_b32 vcc_lo, exec_lo, s39
	s_cbranch_vccnz .LBB51_6
; %bb.8:                                ;   in Loop: Header=BB51_7 Depth=2
	v_lshl_add_u32 v0, s41, 5, v19
	s_mov_b32 s43, 0
	s_delay_alu instid0(VALU_DEP_1) | instskip(SKIP_1) | instid1(VALU_DEP_2)
	v_ashrrev_i32_e32 v1, 31, v0
	v_cmp_gt_i32_e32 vcc_lo, s26, v0
	v_mul_u64_e32 v[2:3], s[28:29], v[0:1]
	v_mul_u64_e32 v[4:5], s[4:5], v[0:1]
	s_and_b32 s42, s1, vcc_lo
	s_delay_alu instid0(VALU_DEP_2) | instskip(NEXT) | instid1(VALU_DEP_2)
	v_lshl_add_u64 v[12:13], v[2:3], 4, s[36:37]
	v_lshl_add_u64 v[14:15], v[4:5], 4, v[10:11]
	s_branch .LBB51_10
.LBB51_9:                               ;   in Loop: Header=BB51_10 Depth=3
	s_wait_xcnt 0x0
	s_or_b32 exec_lo, exec_lo, s2
	s_add_co_i32 s43, s43, 32
	s_wait_storecnt_dscnt 0x0
	s_cmp_ge_i32 s43, s25
	s_barrier_signal -1
	s_barrier_wait -1
	s_cbranch_scc1 .LBB51_6
.LBB51_10:                              ;   Parent Loop BB51_4 Depth=1
                                        ;     Parent Loop BB51_7 Depth=2
                                        ; =>    This Loop Header: Depth=3
                                        ;         Child Loop BB51_16 Depth 4
	v_add_nc_u32_e32 v0, s43, v19
	v_mov_b64_e32 v[4:5], 0
	v_mov_b64_e32 v[6:7], 0
	s_mov_b32 s44, exec_lo
	s_delay_alu instid0(VALU_DEP_3) | instskip(SKIP_1) | instid1(VALU_DEP_1)
	v_cndmask_b32_e64 v1, v0, v8, s0
	v_cndmask_b32_e64 v2, v8, v0, s0
	v_cmp_gt_i32_e64 s2, v1, v2
	s_delay_alu instid0(VALU_DEP_1) | instskip(SKIP_2) | instid1(VALU_DEP_2)
	v_cndmask_b32_e64 v2, v8, v0, s2
	v_cndmask_b32_e64 v16, v0, v8, s2
	v_mov_b64_e32 v[0:1], 0
	v_max_i32_e32 v3, v2, v16
	s_delay_alu instid0(VALU_DEP_1)
	v_cmpx_gt_i32_e64 s25, v3
	s_cbranch_execz .LBB51_12
; %bb.11:                               ;   in Loop: Header=BB51_10 Depth=3
	v_dual_ashrrev_i32 v17, 31, v16 :: v_dual_ashrrev_i32 v3, 31, v2
	s_delay_alu instid0(VALU_DEP_1) | instskip(NEXT) | instid1(VALU_DEP_1)
	v_mul_u64_e32 v[4:5], s[10:11], v[16:17]
	v_lshl_add_u64 v[4:5], v[4:5], 4, s[34:35]
	s_delay_alu instid0(VALU_DEP_1)
	v_lshl_add_u64 v[2:3], v[2:3], 4, v[4:5]
	flat_load_b128 v[4:7], v[2:3]
.LBB51_12:                              ;   in Loop: Header=BB51_10 Depth=3
	s_wait_xcnt 0x0
	s_or_b32 exec_lo, exec_lo, s44
	v_add_nc_u32_e32 v16, s43, v18
	v_mov_b64_e32 v[2:3], 0
	s_wait_loadcnt_dscnt 0x0
	ds_store_b128 v21, v[4:7]
	v_cmp_gt_i32_e64 s2, s25, v16
	s_and_b32 s44, s2, vcc_lo
	s_delay_alu instid0(SALU_CYCLE_1)
	s_and_saveexec_b32 s2, s44
	s_cbranch_execz .LBB51_14
; %bb.13:                               ;   in Loop: Header=BB51_10 Depth=3
	v_ashrrev_i32_e32 v17, 31, v16
	s_delay_alu instid0(VALU_DEP_1)
	v_lshl_add_u64 v[0:1], v[16:17], 4, v[12:13]
	flat_load_b128 v[0:3], v[0:1]
.LBB51_14:                              ;   in Loop: Header=BB51_10 Depth=3
	s_wait_xcnt 0x0
	s_or_b32 exec_lo, exec_lo, s2
	s_wait_loadcnt_dscnt 0x0
	ds_store_b128 v23, v[0:3]
	s_wait_dscnt 0x0
	s_barrier_signal -1
	s_barrier_wait -1
	s_and_saveexec_b32 s2, s42
	s_cbranch_execz .LBB51_9
; %bb.15:                               ;   in Loop: Header=BB51_10 Depth=3
	v_mov_b64_e32 v[0:1], 0
	v_mov_b64_e32 v[2:3], 0
	v_mov_b32_e32 v4, v22
	s_mov_b32 s44, 0
.LBB51_16:                              ;   Parent Loop BB51_4 Depth=1
                                        ;     Parent Loop BB51_7 Depth=2
                                        ;       Parent Loop BB51_10 Depth=3
                                        ; =>      This Inner Loop Header: Depth=4
	s_delay_alu instid0(SALU_CYCLE_1)
	v_add_nc_u32_e32 v5, s44, v20
	s_addk_co_i32 s44, 0x80
	ds_load_b128 v[24:27], v4
	ds_load_b128 v[28:31], v5
	ds_load_b128 v[32:35], v4 offset:512
	ds_load_b128 v[36:39], v5 offset:16
	s_cmp_eq_u32 s44, 0x200
	s_wait_dscnt 0x2
	v_mul_f64_e32 v[6:7], v[26:27], v[30:31]
	v_mul_f64_e32 v[16:17], v[24:25], v[30:31]
	s_wait_dscnt 0x0
	v_mul_f64_e32 v[46:47], v[34:35], v[38:39]
	v_mul_f64_e32 v[48:49], v[32:33], v[38:39]
	s_delay_alu instid0(VALU_DEP_4) | instskip(NEXT) | instid1(VALU_DEP_4)
	v_fma_f64 v[6:7], v[24:25], v[28:29], -v[6:7]
	v_fmac_f64_e32 v[16:17], v[26:27], v[28:29]
	ds_load_b128 v[24:27], v4 offset:1024
	ds_load_b128 v[28:31], v5 offset:32
	;; [unrolled: 1-line block ×4, first 2 shown]
	v_fmac_f64_e32 v[48:49], v[34:35], v[36:37]
	s_wait_dscnt 0x2
	v_mul_f64_e32 v[50:51], v[26:27], v[30:31]
	v_mul_f64_e32 v[52:53], v[24:25], v[30:31]
	v_fma_f64 v[30:31], v[32:33], v[36:37], -v[46:47]
	v_add_f64_e32 v[0:1], v[0:1], v[6:7]
	v_add_f64_e32 v[2:3], v[2:3], v[16:17]
	s_wait_dscnt 0x0
	v_mul_f64_e32 v[6:7], v[40:41], v[44:45]
	v_mul_f64_e32 v[16:17], v[38:39], v[44:45]
	v_fma_f64 v[36:37], v[24:25], v[28:29], -v[50:51]
	v_fmac_f64_e32 v[52:53], v[26:27], v[28:29]
	v_add_f64_e32 v[44:45], v[0:1], v[30:31]
	v_add_f64_e32 v[46:47], v[2:3], v[48:49]
	ds_load_b128 v[0:3], v4 offset:2048
	ds_load_b128 v[24:27], v5 offset:64
	;; [unrolled: 1-line block ×4, first 2 shown]
	v_fma_f64 v[6:7], v[38:39], v[42:43], -v[6:7]
	v_fmac_f64_e32 v[16:17], v[40:41], v[42:43]
	s_wait_dscnt 0x2
	v_mul_f64_e32 v[48:49], v[2:3], v[26:27]
	v_mul_f64_e32 v[50:51], v[0:1], v[26:27]
	s_wait_dscnt 0x0
	v_mul_f64_e32 v[42:43], v[30:31], v[34:35]
	v_add_f64_e32 v[26:27], v[44:45], v[36:37]
	v_add_f64_e32 v[36:37], v[46:47], v[52:53]
	v_mul_f64_e32 v[44:45], v[28:29], v[34:35]
	v_fma_f64 v[46:47], v[0:1], v[24:25], -v[48:49]
	v_fmac_f64_e32 v[50:51], v[2:3], v[24:25]
	v_fma_f64 v[28:29], v[28:29], v[32:33], -v[42:43]
	v_add_f64_e32 v[6:7], v[26:27], v[6:7]
	v_add_f64_e32 v[16:17], v[36:37], v[16:17]
	ds_load_b128 v[0:3], v4 offset:3072
	ds_load_b128 v[24:27], v5 offset:96
	;; [unrolled: 1-line block ×4, first 2 shown]
	v_fmac_f64_e32 v[44:45], v[30:31], v[32:33]
	v_add_nc_u32_e32 v4, 0x1000, v4
	s_wait_dscnt 0x2
	v_mul_f64_e32 v[48:49], v[2:3], v[26:27]
	v_mul_f64_e32 v[26:27], v[0:1], v[26:27]
	s_wait_dscnt 0x0
	v_mul_f64_e32 v[30:31], v[36:37], v[40:41]
	v_mul_f64_e32 v[32:33], v[34:35], v[40:41]
	v_add_f64_e32 v[6:7], v[6:7], v[46:47]
	v_add_f64_e32 v[16:17], v[16:17], v[50:51]
	v_fma_f64 v[0:1], v[0:1], v[24:25], -v[48:49]
	v_fmac_f64_e32 v[26:27], v[2:3], v[24:25]
	v_fmac_f64_e32 v[32:33], v[36:37], v[38:39]
	v_add_f64_e32 v[2:3], v[6:7], v[28:29]
	v_add_f64_e32 v[6:7], v[16:17], v[44:45]
	v_fma_f64 v[16:17], v[34:35], v[38:39], -v[30:31]
	s_delay_alu instid0(VALU_DEP_3) | instskip(NEXT) | instid1(VALU_DEP_3)
	v_add_f64_e32 v[0:1], v[2:3], v[0:1]
	v_add_f64_e32 v[2:3], v[6:7], v[26:27]
	s_delay_alu instid0(VALU_DEP_2) | instskip(NEXT) | instid1(VALU_DEP_2)
	v_add_f64_e32 v[0:1], v[0:1], v[16:17]
	v_add_f64_e32 v[2:3], v[2:3], v[32:33]
	s_cbranch_scc0 .LBB51_16
; %bb.17:                               ;   in Loop: Header=BB51_10 Depth=3
	flat_load_b128 v[4:7], v[14:15]
	v_mul_f64_e32 v[16:17], s[14:15], v[2:3]
	v_mul_f64_e32 v[24:25], s[14:15], v[0:1]
	s_delay_alu instid0(VALU_DEP_2) | instskip(NEXT) | instid1(VALU_DEP_2)
	v_fma_f64 v[0:1], s[12:13], v[0:1], -v[16:17]
	v_fmac_f64_e32 v[24:25], s[12:13], v[2:3]
	s_wait_loadcnt_dscnt 0x0
	s_delay_alu instid0(VALU_DEP_2) | instskip(NEXT) | instid1(VALU_DEP_2)
	v_add_f64_e32 v[0:1], v[0:1], v[4:5]
	v_add_f64_e32 v[2:3], v[24:25], v[6:7]
	flat_store_b128 v[14:15], v[0:3]
	s_branch .LBB51_9
.LBB51_18:
	s_endpgm
	.section	.rodata,"a",@progbits
	.p2align	6, 0x0
	.amdhsa_kernel _ZL24rocblas_symm_hemm_kernelILb0ELb0ELi32EPK19rocblas_complex_numIdEPKS3_PKPS1_EvbiiT2_T3_lllSA_lllT4_llli
		.amdhsa_group_segment_fixed_size 32768
		.amdhsa_private_segment_fixed_size 0
		.amdhsa_kernarg_size 384
		.amdhsa_user_sgpr_count 2
		.amdhsa_user_sgpr_dispatch_ptr 0
		.amdhsa_user_sgpr_queue_ptr 0
		.amdhsa_user_sgpr_kernarg_segment_ptr 1
		.amdhsa_user_sgpr_dispatch_id 0
		.amdhsa_user_sgpr_kernarg_preload_length 0
		.amdhsa_user_sgpr_kernarg_preload_offset 0
		.amdhsa_user_sgpr_private_segment_size 0
		.amdhsa_wavefront_size32 1
		.amdhsa_uses_dynamic_stack 0
		.amdhsa_enable_private_segment 0
		.amdhsa_system_sgpr_workgroup_id_x 1
		.amdhsa_system_sgpr_workgroup_id_y 1
		.amdhsa_system_sgpr_workgroup_id_z 1
		.amdhsa_system_sgpr_workgroup_info 0
		.amdhsa_system_vgpr_workitem_id 1
		.amdhsa_next_free_vgpr 54
		.amdhsa_next_free_sgpr 45
		.amdhsa_named_barrier_count 0
		.amdhsa_reserve_vcc 1
		.amdhsa_float_round_mode_32 0
		.amdhsa_float_round_mode_16_64 0
		.amdhsa_float_denorm_mode_32 3
		.amdhsa_float_denorm_mode_16_64 3
		.amdhsa_fp16_overflow 0
		.amdhsa_memory_ordered 1
		.amdhsa_forward_progress 1
		.amdhsa_inst_pref_size 11
		.amdhsa_round_robin_scheduling 0
		.amdhsa_exception_fp_ieee_invalid_op 0
		.amdhsa_exception_fp_denorm_src 0
		.amdhsa_exception_fp_ieee_div_zero 0
		.amdhsa_exception_fp_ieee_overflow 0
		.amdhsa_exception_fp_ieee_underflow 0
		.amdhsa_exception_fp_ieee_inexact 0
		.amdhsa_exception_int_div_zero 0
	.end_amdhsa_kernel
	.section	.text._ZL24rocblas_symm_hemm_kernelILb0ELb0ELi32EPK19rocblas_complex_numIdEPKS3_PKPS1_EvbiiT2_T3_lllSA_lllT4_llli,"axG",@progbits,_ZL24rocblas_symm_hemm_kernelILb0ELb0ELi32EPK19rocblas_complex_numIdEPKS3_PKPS1_EvbiiT2_T3_lllSA_lllT4_llli,comdat
.Lfunc_end51:
	.size	_ZL24rocblas_symm_hemm_kernelILb0ELb0ELi32EPK19rocblas_complex_numIdEPKS3_PKPS1_EvbiiT2_T3_lllSA_lllT4_llli, .Lfunc_end51-_ZL24rocblas_symm_hemm_kernelILb0ELb0ELi32EPK19rocblas_complex_numIdEPKS3_PKPS1_EvbiiT2_T3_lllSA_lllT4_llli
                                        ; -- End function
	.set _ZL24rocblas_symm_hemm_kernelILb0ELb0ELi32EPK19rocblas_complex_numIdEPKS3_PKPS1_EvbiiT2_T3_lllSA_lllT4_llli.num_vgpr, 54
	.set _ZL24rocblas_symm_hemm_kernelILb0ELb0ELi32EPK19rocblas_complex_numIdEPKS3_PKPS1_EvbiiT2_T3_lllSA_lllT4_llli.num_agpr, 0
	.set _ZL24rocblas_symm_hemm_kernelILb0ELb0ELi32EPK19rocblas_complex_numIdEPKS3_PKPS1_EvbiiT2_T3_lllSA_lllT4_llli.numbered_sgpr, 45
	.set _ZL24rocblas_symm_hemm_kernelILb0ELb0ELi32EPK19rocblas_complex_numIdEPKS3_PKPS1_EvbiiT2_T3_lllSA_lllT4_llli.num_named_barrier, 0
	.set _ZL24rocblas_symm_hemm_kernelILb0ELb0ELi32EPK19rocblas_complex_numIdEPKS3_PKPS1_EvbiiT2_T3_lllSA_lllT4_llli.private_seg_size, 0
	.set _ZL24rocblas_symm_hemm_kernelILb0ELb0ELi32EPK19rocblas_complex_numIdEPKS3_PKPS1_EvbiiT2_T3_lllSA_lllT4_llli.uses_vcc, 1
	.set _ZL24rocblas_symm_hemm_kernelILb0ELb0ELi32EPK19rocblas_complex_numIdEPKS3_PKPS1_EvbiiT2_T3_lllSA_lllT4_llli.uses_flat_scratch, 0
	.set _ZL24rocblas_symm_hemm_kernelILb0ELb0ELi32EPK19rocblas_complex_numIdEPKS3_PKPS1_EvbiiT2_T3_lllSA_lllT4_llli.has_dyn_sized_stack, 0
	.set _ZL24rocblas_symm_hemm_kernelILb0ELb0ELi32EPK19rocblas_complex_numIdEPKS3_PKPS1_EvbiiT2_T3_lllSA_lllT4_llli.has_recursion, 0
	.set _ZL24rocblas_symm_hemm_kernelILb0ELb0ELi32EPK19rocblas_complex_numIdEPKS3_PKPS1_EvbiiT2_T3_lllSA_lllT4_llli.has_indirect_call, 0
	.section	.AMDGPU.csdata,"",@progbits
; Kernel info:
; codeLenInByte = 1372
; TotalNumSgprs: 47
; NumVgprs: 54
; ScratchSize: 0
; MemoryBound: 1
; FloatMode: 240
; IeeeMode: 1
; LDSByteSize: 32768 bytes/workgroup (compile time only)
; SGPRBlocks: 0
; VGPRBlocks: 3
; NumSGPRsForWavesPerEU: 47
; NumVGPRsForWavesPerEU: 54
; NamedBarCnt: 0
; Occupancy: 16
; WaveLimiterHint : 1
; COMPUTE_PGM_RSRC2:SCRATCH_EN: 0
; COMPUTE_PGM_RSRC2:USER_SGPR: 2
; COMPUTE_PGM_RSRC2:TRAP_HANDLER: 0
; COMPUTE_PGM_RSRC2:TGID_X_EN: 1
; COMPUTE_PGM_RSRC2:TGID_Y_EN: 1
; COMPUTE_PGM_RSRC2:TGID_Z_EN: 1
; COMPUTE_PGM_RSRC2:TIDIG_COMP_CNT: 1
	.section	.text._ZL24rocblas_symm_hemm_kernelILb0ELb1ELi32EPK19rocblas_complex_numIdEPKS3_PKPS1_EvbiiT2_T3_lllSA_lllT4_llli,"axG",@progbits,_ZL24rocblas_symm_hemm_kernelILb0ELb1ELi32EPK19rocblas_complex_numIdEPKS3_PKPS1_EvbiiT2_T3_lllSA_lllT4_llli,comdat
	.globl	_ZL24rocblas_symm_hemm_kernelILb0ELb1ELi32EPK19rocblas_complex_numIdEPKS3_PKPS1_EvbiiT2_T3_lllSA_lllT4_llli ; -- Begin function _ZL24rocblas_symm_hemm_kernelILb0ELb1ELi32EPK19rocblas_complex_numIdEPKS3_PKPS1_EvbiiT2_T3_lllSA_lllT4_llli
	.p2align	8
	.type	_ZL24rocblas_symm_hemm_kernelILb0ELb1ELi32EPK19rocblas_complex_numIdEPKS3_PKPS1_EvbiiT2_T3_lllSA_lllT4_llli,@function
_ZL24rocblas_symm_hemm_kernelILb0ELb1ELi32EPK19rocblas_complex_numIdEPKS3_PKPS1_EvbiiT2_T3_lllSA_lllT4_llli: ; @_ZL24rocblas_symm_hemm_kernelILb0ELb1ELi32EPK19rocblas_complex_numIdEPKS3_PKPS1_EvbiiT2_T3_lllSA_lllT4_llli
; %bb.0:
	s_load_b256 s[4:11], s[0:1], 0x10
	s_wait_kmcnt 0x0
	s_load_b128 s[12:15], s[4:5], 0x0
	s_wait_kmcnt 0x0
	v_cmp_eq_f64_e64 s2, s[12:13], 0
	v_cmp_eq_f64_e64 s3, s[14:15], 0
	s_and_b32 s2, s2, s3
	s_delay_alu instid0(SALU_CYCLE_1)
	s_and_b32 vcc_lo, exec_lo, s2
	s_cbranch_vccnz .LBB52_18
; %bb.1:
	s_load_b32 s27, s[0:1], 0x78
	s_bfe_u32 s2, ttmp6, 0x40014
	s_lshr_b32 s4, ttmp7, 16
	s_add_co_i32 s2, s2, 1
	s_bfe_u32 s5, ttmp6, 0x40008
	s_mul_i32 s2, s4, s2
	s_getreg_b32 s3, hwreg(HW_REG_IB_STS2, 6, 4)
	s_add_co_i32 s5, s5, s2
	s_cmp_eq_u32 s3, 0
	s_cselect_b32 s30, s4, s5
	s_wait_kmcnt 0x0
	s_cmp_ge_u32 s30, s27
	s_cbranch_scc1 .LBB52_18
; %bb.2:
	s_clause 0x2
	s_load_b96 s[24:26], s[0:1], 0x0
	s_load_b128 s[16:19], s[0:1], 0x38
	s_load_b64 s[4:5], s[0:1], 0x68
	v_and_b32_e32 v22, 0x3ff, v0
	s_clause 0x1
	s_load_b64 s[28:29], s[0:1], 0x48
	s_load_b128 s[20:23], s[0:1], 0x58
	v_bfe_u32 v23, v0, 10, 10
	s_wait_xcnt 0x0
	s_add_nc_u64 s[0:1], s[0:1], 0x80
	s_delay_alu instid0(VALU_DEP_1) | instskip(NEXT) | instid1(VALU_DEP_1)
	v_dual_lshlrev_b32 v24, 9, v22 :: v_dual_lshlrev_b32 v2, 4, v23
	v_or_b32_e32 v25, 0x4000, v2
	s_delay_alu instid0(VALU_DEP_2) | instskip(SKIP_2) | instid1(VALU_DEP_2)
	v_add_nc_u32_e32 v26, v24, v2
	s_wait_kmcnt 0x0
	s_bitcmp1_b32 s24, 0
	v_add_nc_u32_e32 v27, v25, v24
	s_cselect_b32 s2, -1, 0
	s_add_co_i32 s24, s26, -1
	s_bfe_u32 s33, ttmp6, 0x4000c
	s_bfe_u32 s35, ttmp6, 0x40010
	s_ashr_i32 s37, s24, 31
	s_and_b32 s34, ttmp7, 0xffff
	s_add_co_i32 s33, s33, 1
	s_add_co_i32 s35, s35, 1
	s_lshr_b32 s37, s37, 27
	s_and_b32 s31, ttmp6, 15
	s_bfe_u32 s36, ttmp6, 0x40004
	s_mul_i32 s33, ttmp9, s33
	s_mul_i32 s35, s34, s35
	s_add_co_i32 s24, s24, s37
	s_add_co_i32 s33, s31, s33
	s_add_co_i32 s36, s36, s35
	s_ashr_i32 s31, s24, 5
	s_cmp_eq_u32 s3, 0
	s_cselect_b32 s3, ttmp9, s33
	s_cselect_b32 s33, s34, s36
	v_lshl_add_u32 v0, s3, 5, v22
	s_cmp_le_i32 s33, s31
	s_cselect_b32 s34, -1, 0
	s_cmp_gt_i32 s26, 0
	s_delay_alu instid0(VALU_DEP_1)
	v_ashrrev_i32_e32 v1, 31, v0
	v_cmp_gt_i32_e64 s3, s25, v0
	s_cselect_b32 s35, -1, 0
	s_lshl_b64 s[8:9], s[8:9], 4
	s_lshl_b64 s[22:23], s[22:23], 4
	v_lshlrev_b64_e32 v[8:9], 4, v[0:1]
	s_lshl_b64 s[18:19], s[18:19], 4
	s_branch .LBB52_4
.LBB52_3:                               ;   in Loop: Header=BB52_4 Depth=1
	s_add_co_i32 s30, s30, 0x10000
	s_delay_alu instid0(SALU_CYCLE_1)
	s_cmp_lt_u32 s30, s27
	s_cbranch_scc0 .LBB52_18
.LBB52_4:                               ; =>This Loop Header: Depth=1
                                        ;     Child Loop BB52_7 Depth 2
                                        ;       Child Loop BB52_10 Depth 3
                                        ;         Child Loop BB52_16 Depth 4
	s_and_not1_b32 vcc_lo, exec_lo, s34
	s_cbranch_vccnz .LBB52_3
; %bb.5:                                ;   in Loop: Header=BB52_4 Depth=1
	s_load_b64 s[24:25], s[16:17], s30 offset:0x0 scale_offset
	s_load_b64 s[38:39], s[20:21], s30 offset:0x0 scale_offset
	;; [unrolled: 1-line block ×3, first 2 shown]
	s_load_b32 s36, s[0:1], 0x4
	s_mov_b32 s37, s33
	s_wait_kmcnt 0x0
	s_add_nc_u64 s[24:25], s[24:25], s[18:19]
	s_add_nc_u64 s[38:39], s[38:39], s[22:23]
	v_add_nc_u64_e32 v[10:11], s[24:25], v[8:9]
	v_add_nc_u64_e32 v[12:13], s[38:39], v[8:9]
	s_add_nc_u64 s[24:25], s[40:41], s[8:9]
	s_branch .LBB52_7
.LBB52_6:                               ;   in Loop: Header=BB52_7 Depth=2
	s_add_co_i32 s37, s37, s36
	s_delay_alu instid0(SALU_CYCLE_1)
	s_cmp_gt_i32 s37, s31
	s_cbranch_scc1 .LBB52_3
.LBB52_7:                               ;   Parent Loop BB52_4 Depth=1
                                        ; =>  This Loop Header: Depth=2
                                        ;       Child Loop BB52_10 Depth 3
                                        ;         Child Loop BB52_16 Depth 4
	s_and_not1_b32 vcc_lo, exec_lo, s35
	s_cbranch_vccnz .LBB52_6
; %bb.8:                                ;   in Loop: Header=BB52_7 Depth=2
	v_lshl_add_u32 v14, s37, 5, v23
	s_mov_b32 s39, 0
	s_delay_alu instid0(VALU_DEP_1) | instskip(SKIP_1) | instid1(VALU_DEP_2)
	v_ashrrev_i32_e32 v15, 31, v14
	v_cmp_gt_i32_e32 vcc_lo, s26, v14
	v_mul_u64_e32 v[0:1], s[4:5], v[14:15]
	s_and_b32 s38, s3, vcc_lo
	s_delay_alu instid0(VALU_DEP_1)
	v_lshl_add_u64 v[16:17], v[0:1], 4, v[12:13]
	s_branch .LBB52_10
.LBB52_9:                               ;   in Loop: Header=BB52_10 Depth=3
	s_wait_xcnt 0x0
	s_or_b32 exec_lo, exec_lo, s40
	s_add_co_i32 s39, s39, 32
	s_wait_storecnt_dscnt 0x0
	s_cmp_ge_i32 s39, s26
	s_barrier_signal -1
	s_barrier_wait -1
	s_cbranch_scc1 .LBB52_6
.LBB52_10:                              ;   Parent Loop BB52_4 Depth=1
                                        ;     Parent Loop BB52_7 Depth=2
                                        ; =>    This Loop Header: Depth=3
                                        ;         Child Loop BB52_16 Depth 4
	v_add_nc_u32_e32 v2, s39, v23
	v_mov_b64_e32 v[0:1], 0
	v_mov_b64_e32 v[4:5], 0
	;; [unrolled: 1-line block ×3, first 2 shown]
	s_delay_alu instid0(VALU_DEP_4) | instskip(SKIP_1) | instid1(SALU_CYCLE_1)
	v_cmp_gt_i32_e32 vcc_lo, s26, v2
	s_and_b32 s41, s3, vcc_lo
	s_and_saveexec_b32 s40, s41
	s_cbranch_execz .LBB52_12
; %bb.11:                               ;   in Loop: Header=BB52_10 Depth=3
	v_ashrrev_i32_e32 v3, 31, v2
	s_delay_alu instid0(VALU_DEP_1) | instskip(NEXT) | instid1(VALU_DEP_1)
	v_mul_u64_e32 v[2:3], s[28:29], v[2:3]
	v_lshl_add_u64 v[2:3], v[2:3], 4, v[10:11]
	flat_load_b128 v[4:7], v[2:3]
.LBB52_12:                              ;   in Loop: Header=BB52_10 Depth=3
	s_wait_xcnt 0x0
	s_or_b32 exec_lo, exec_lo, s40
	v_add_nc_u32_e32 v2, s39, v22
	s_mov_b32 s40, exec_lo
	s_wait_loadcnt_dscnt 0x0
	ds_store_b128 v26, v[4:7]
	v_cndmask_b32_e64 v3, v14, v2, s2
	v_cndmask_b32_e64 v15, v2, v14, s2
	s_delay_alu instid0(VALU_DEP_1) | instskip(SKIP_3) | instid1(VALU_DEP_2)
	v_cmp_gt_i32_e32 vcc_lo, v3, v15
	v_cndmask_b32_e32 v18, v2, v14, vcc_lo
	v_cndmask_b32_e32 v20, v14, v2, vcc_lo
	v_mov_b64_e32 v[2:3], 0
	v_max_i32_e32 v15, v18, v20
	s_delay_alu instid0(VALU_DEP_1)
	v_cmpx_gt_i32_e64 s26, v15
	s_cbranch_execz .LBB52_14
; %bb.13:                               ;   in Loop: Header=BB52_10 Depth=3
	v_dual_ashrrev_i32 v21, 31, v20 :: v_dual_ashrrev_i32 v19, 31, v18
	s_delay_alu instid0(VALU_DEP_1) | instskip(NEXT) | instid1(VALU_DEP_1)
	v_mul_u64_e32 v[0:1], s[10:11], v[20:21]
	v_lshl_add_u64 v[0:1], v[0:1], 4, s[24:25]
	s_delay_alu instid0(VALU_DEP_1)
	v_lshl_add_u64 v[0:1], v[18:19], 4, v[0:1]
	flat_load_b128 v[0:3], v[0:1]
.LBB52_14:                              ;   in Loop: Header=BB52_10 Depth=3
	s_wait_xcnt 0x0
	s_or_b32 exec_lo, exec_lo, s40
	s_wait_loadcnt_dscnt 0x0
	ds_store_b128 v27, v[0:3]
	s_wait_dscnt 0x0
	s_barrier_signal -1
	s_barrier_wait -1
	s_and_saveexec_b32 s40, s38
	s_cbranch_execz .LBB52_9
; %bb.15:                               ;   in Loop: Header=BB52_10 Depth=3
	v_mov_b64_e32 v[0:1], 0
	v_mov_b64_e32 v[2:3], 0
	v_mov_b32_e32 v4, v25
	s_mov_b32 s41, 0
.LBB52_16:                              ;   Parent Loop BB52_4 Depth=1
                                        ;     Parent Loop BB52_7 Depth=2
                                        ;       Parent Loop BB52_10 Depth=3
                                        ; =>      This Inner Loop Header: Depth=4
	s_delay_alu instid0(SALU_CYCLE_1)
	v_add_nc_u32_e32 v5, s41, v24
	s_addk_co_i32 s41, 0x80
	ds_load_b128 v[18:21], v4
	ds_load_b128 v[28:31], v5
	ds_load_b128 v[32:35], v4 offset:512
	ds_load_b128 v[36:39], v5 offset:16
	s_cmp_eq_u32 s41, 0x200
	s_wait_dscnt 0x2
	v_mul_f64_e32 v[6:7], v[20:21], v[30:31]
	v_mul_f64_e32 v[46:47], v[18:19], v[30:31]
	s_wait_dscnt 0x0
	v_mul_f64_e32 v[48:49], v[34:35], v[38:39]
	v_mul_f64_e32 v[50:51], v[32:33], v[38:39]
	s_delay_alu instid0(VALU_DEP_4) | instskip(NEXT) | instid1(VALU_DEP_4)
	v_fma_f64 v[6:7], v[18:19], v[28:29], -v[6:7]
	v_fmac_f64_e32 v[46:47], v[20:21], v[28:29]
	ds_load_b128 v[18:21], v4 offset:1024
	ds_load_b128 v[28:31], v5 offset:32
	;; [unrolled: 1-line block ×4, first 2 shown]
	v_fmac_f64_e32 v[50:51], v[34:35], v[36:37]
	s_wait_dscnt 0x2
	v_mul_f64_e32 v[52:53], v[20:21], v[30:31]
	v_mul_f64_e32 v[54:55], v[18:19], v[30:31]
	v_fma_f64 v[30:31], v[32:33], v[36:37], -v[48:49]
	s_wait_dscnt 0x0
	v_mul_f64_e32 v[36:37], v[38:39], v[44:45]
	v_add_f64_e32 v[0:1], v[0:1], v[6:7]
	v_add_f64_e32 v[2:3], v[2:3], v[46:47]
	v_mul_f64_e32 v[6:7], v[40:41], v[44:45]
	v_fma_f64 v[44:45], v[18:19], v[28:29], -v[52:53]
	v_fmac_f64_e32 v[54:55], v[20:21], v[28:29]
	v_fmac_f64_e32 v[36:37], v[40:41], v[42:43]
	v_add_f64_e32 v[46:47], v[0:1], v[30:31]
	v_add_f64_e32 v[48:49], v[2:3], v[50:51]
	ds_load_b128 v[0:3], v4 offset:2048
	ds_load_b128 v[18:21], v5 offset:64
	;; [unrolled: 1-line block ×4, first 2 shown]
	v_fma_f64 v[6:7], v[38:39], v[42:43], -v[6:7]
	s_wait_dscnt 0x2
	v_mul_f64_e32 v[50:51], v[2:3], v[20:21]
	v_mul_f64_e32 v[52:53], v[0:1], v[20:21]
	s_wait_dscnt 0x0
	v_mul_f64_e32 v[42:43], v[30:31], v[34:35]
	v_add_f64_e32 v[20:21], v[46:47], v[44:45]
	v_add_f64_e32 v[38:39], v[48:49], v[54:55]
	v_mul_f64_e32 v[44:45], v[28:29], v[34:35]
	v_fma_f64 v[46:47], v[0:1], v[18:19], -v[50:51]
	v_fmac_f64_e32 v[52:53], v[2:3], v[18:19]
	v_fma_f64 v[28:29], v[28:29], v[32:33], -v[42:43]
	v_add_f64_e32 v[6:7], v[20:21], v[6:7]
	v_add_f64_e32 v[48:49], v[38:39], v[36:37]
	ds_load_b128 v[0:3], v4 offset:3072
	ds_load_b128 v[18:21], v5 offset:96
	;; [unrolled: 1-line block ×4, first 2 shown]
	v_fmac_f64_e32 v[44:45], v[30:31], v[32:33]
	v_add_nc_u32_e32 v4, 0x1000, v4
	s_wait_dscnt 0x2
	v_mul_f64_e32 v[50:51], v[2:3], v[20:21]
	v_mul_f64_e32 v[20:21], v[0:1], v[20:21]
	s_wait_dscnt 0x0
	v_mul_f64_e32 v[32:33], v[36:37], v[40:41]
	v_mul_f64_e32 v[40:41], v[34:35], v[40:41]
	v_add_f64_e32 v[6:7], v[6:7], v[46:47]
	v_add_f64_e32 v[30:31], v[48:49], v[52:53]
	v_fma_f64 v[0:1], v[0:1], v[18:19], -v[50:51]
	v_fmac_f64_e32 v[20:21], v[2:3], v[18:19]
	v_fma_f64 v[18:19], v[34:35], v[38:39], -v[32:33]
	v_fmac_f64_e32 v[40:41], v[36:37], v[38:39]
	v_add_f64_e32 v[2:3], v[6:7], v[28:29]
	v_add_f64_e32 v[6:7], v[30:31], v[44:45]
	s_delay_alu instid0(VALU_DEP_2) | instskip(NEXT) | instid1(VALU_DEP_2)
	v_add_f64_e32 v[0:1], v[2:3], v[0:1]
	v_add_f64_e32 v[2:3], v[6:7], v[20:21]
	s_delay_alu instid0(VALU_DEP_2) | instskip(NEXT) | instid1(VALU_DEP_2)
	v_add_f64_e32 v[0:1], v[0:1], v[18:19]
	v_add_f64_e32 v[2:3], v[2:3], v[40:41]
	s_cbranch_scc0 .LBB52_16
; %bb.17:                               ;   in Loop: Header=BB52_10 Depth=3
	flat_load_b128 v[4:7], v[16:17]
	v_mul_f64_e32 v[18:19], s[14:15], v[2:3]
	v_mul_f64_e32 v[20:21], s[14:15], v[0:1]
	s_delay_alu instid0(VALU_DEP_2) | instskip(NEXT) | instid1(VALU_DEP_2)
	v_fma_f64 v[0:1], s[12:13], v[0:1], -v[18:19]
	v_fmac_f64_e32 v[20:21], s[12:13], v[2:3]
	s_wait_loadcnt_dscnt 0x0
	s_delay_alu instid0(VALU_DEP_2) | instskip(NEXT) | instid1(VALU_DEP_2)
	v_add_f64_e32 v[0:1], v[0:1], v[4:5]
	v_add_f64_e32 v[2:3], v[20:21], v[6:7]
	flat_store_b128 v[16:17], v[0:3]
	s_branch .LBB52_9
.LBB52_18:
	s_endpgm
	.section	.rodata,"a",@progbits
	.p2align	6, 0x0
	.amdhsa_kernel _ZL24rocblas_symm_hemm_kernelILb0ELb1ELi32EPK19rocblas_complex_numIdEPKS3_PKPS1_EvbiiT2_T3_lllSA_lllT4_llli
		.amdhsa_group_segment_fixed_size 32768
		.amdhsa_private_segment_fixed_size 0
		.amdhsa_kernarg_size 384
		.amdhsa_user_sgpr_count 2
		.amdhsa_user_sgpr_dispatch_ptr 0
		.amdhsa_user_sgpr_queue_ptr 0
		.amdhsa_user_sgpr_kernarg_segment_ptr 1
		.amdhsa_user_sgpr_dispatch_id 0
		.amdhsa_user_sgpr_kernarg_preload_length 0
		.amdhsa_user_sgpr_kernarg_preload_offset 0
		.amdhsa_user_sgpr_private_segment_size 0
		.amdhsa_wavefront_size32 1
		.amdhsa_uses_dynamic_stack 0
		.amdhsa_enable_private_segment 0
		.amdhsa_system_sgpr_workgroup_id_x 1
		.amdhsa_system_sgpr_workgroup_id_y 1
		.amdhsa_system_sgpr_workgroup_id_z 1
		.amdhsa_system_sgpr_workgroup_info 0
		.amdhsa_system_vgpr_workitem_id 1
		.amdhsa_next_free_vgpr 56
		.amdhsa_next_free_sgpr 42
		.amdhsa_named_barrier_count 0
		.amdhsa_reserve_vcc 1
		.amdhsa_float_round_mode_32 0
		.amdhsa_float_round_mode_16_64 0
		.amdhsa_float_denorm_mode_32 3
		.amdhsa_float_denorm_mode_16_64 3
		.amdhsa_fp16_overflow 0
		.amdhsa_memory_ordered 1
		.amdhsa_forward_progress 1
		.amdhsa_inst_pref_size 11
		.amdhsa_round_robin_scheduling 0
		.amdhsa_exception_fp_ieee_invalid_op 0
		.amdhsa_exception_fp_denorm_src 0
		.amdhsa_exception_fp_ieee_div_zero 0
		.amdhsa_exception_fp_ieee_overflow 0
		.amdhsa_exception_fp_ieee_underflow 0
		.amdhsa_exception_fp_ieee_inexact 0
		.amdhsa_exception_int_div_zero 0
	.end_amdhsa_kernel
	.section	.text._ZL24rocblas_symm_hemm_kernelILb0ELb1ELi32EPK19rocblas_complex_numIdEPKS3_PKPS1_EvbiiT2_T3_lllSA_lllT4_llli,"axG",@progbits,_ZL24rocblas_symm_hemm_kernelILb0ELb1ELi32EPK19rocblas_complex_numIdEPKS3_PKPS1_EvbiiT2_T3_lllSA_lllT4_llli,comdat
.Lfunc_end52:
	.size	_ZL24rocblas_symm_hemm_kernelILb0ELb1ELi32EPK19rocblas_complex_numIdEPKS3_PKPS1_EvbiiT2_T3_lllSA_lllT4_llli, .Lfunc_end52-_ZL24rocblas_symm_hemm_kernelILb0ELb1ELi32EPK19rocblas_complex_numIdEPKS3_PKPS1_EvbiiT2_T3_lllSA_lllT4_llli
                                        ; -- End function
	.set _ZL24rocblas_symm_hemm_kernelILb0ELb1ELi32EPK19rocblas_complex_numIdEPKS3_PKPS1_EvbiiT2_T3_lllSA_lllT4_llli.num_vgpr, 56
	.set _ZL24rocblas_symm_hemm_kernelILb0ELb1ELi32EPK19rocblas_complex_numIdEPKS3_PKPS1_EvbiiT2_T3_lllSA_lllT4_llli.num_agpr, 0
	.set _ZL24rocblas_symm_hemm_kernelILb0ELb1ELi32EPK19rocblas_complex_numIdEPKS3_PKPS1_EvbiiT2_T3_lllSA_lllT4_llli.numbered_sgpr, 42
	.set _ZL24rocblas_symm_hemm_kernelILb0ELb1ELi32EPK19rocblas_complex_numIdEPKS3_PKPS1_EvbiiT2_T3_lllSA_lllT4_llli.num_named_barrier, 0
	.set _ZL24rocblas_symm_hemm_kernelILb0ELb1ELi32EPK19rocblas_complex_numIdEPKS3_PKPS1_EvbiiT2_T3_lllSA_lllT4_llli.private_seg_size, 0
	.set _ZL24rocblas_symm_hemm_kernelILb0ELb1ELi32EPK19rocblas_complex_numIdEPKS3_PKPS1_EvbiiT2_T3_lllSA_lllT4_llli.uses_vcc, 1
	.set _ZL24rocblas_symm_hemm_kernelILb0ELb1ELi32EPK19rocblas_complex_numIdEPKS3_PKPS1_EvbiiT2_T3_lllSA_lllT4_llli.uses_flat_scratch, 0
	.set _ZL24rocblas_symm_hemm_kernelILb0ELb1ELi32EPK19rocblas_complex_numIdEPKS3_PKPS1_EvbiiT2_T3_lllSA_lllT4_llli.has_dyn_sized_stack, 0
	.set _ZL24rocblas_symm_hemm_kernelILb0ELb1ELi32EPK19rocblas_complex_numIdEPKS3_PKPS1_EvbiiT2_T3_lllSA_lllT4_llli.has_recursion, 0
	.set _ZL24rocblas_symm_hemm_kernelILb0ELb1ELi32EPK19rocblas_complex_numIdEPKS3_PKPS1_EvbiiT2_T3_lllSA_lllT4_llli.has_indirect_call, 0
	.section	.AMDGPU.csdata,"",@progbits
; Kernel info:
; codeLenInByte = 1352
; TotalNumSgprs: 44
; NumVgprs: 56
; ScratchSize: 0
; MemoryBound: 1
; FloatMode: 240
; IeeeMode: 1
; LDSByteSize: 32768 bytes/workgroup (compile time only)
; SGPRBlocks: 0
; VGPRBlocks: 3
; NumSGPRsForWavesPerEU: 44
; NumVGPRsForWavesPerEU: 56
; NamedBarCnt: 0
; Occupancy: 16
; WaveLimiterHint : 1
; COMPUTE_PGM_RSRC2:SCRATCH_EN: 0
; COMPUTE_PGM_RSRC2:USER_SGPR: 2
; COMPUTE_PGM_RSRC2:TRAP_HANDLER: 0
; COMPUTE_PGM_RSRC2:TGID_X_EN: 1
; COMPUTE_PGM_RSRC2:TGID_Y_EN: 1
; COMPUTE_PGM_RSRC2:TGID_Z_EN: 1
; COMPUTE_PGM_RSRC2:TIDIG_COMP_CNT: 1
	.section	.text._ZL25rocblas_symm_scale_kernelILi128ELi8E19rocblas_complex_numIdEPKPS1_EviiT1_T2_llli,"axG",@progbits,_ZL25rocblas_symm_scale_kernelILi128ELi8E19rocblas_complex_numIdEPKPS1_EviiT1_T2_llli,comdat
	.globl	_ZL25rocblas_symm_scale_kernelILi128ELi8E19rocblas_complex_numIdEPKPS1_EviiT1_T2_llli ; -- Begin function _ZL25rocblas_symm_scale_kernelILi128ELi8E19rocblas_complex_numIdEPKPS1_EviiT1_T2_llli
	.p2align	8
	.type	_ZL25rocblas_symm_scale_kernelILi128ELi8E19rocblas_complex_numIdEPKPS1_EviiT1_T2_llli,@function
_ZL25rocblas_symm_scale_kernelILi128ELi8E19rocblas_complex_numIdEPKPS1_EviiT1_T2_llli: ; @_ZL25rocblas_symm_scale_kernelILi128ELi8E19rocblas_complex_numIdEPKPS1_EviiT1_T2_llli
; %bb.0:
	s_load_b256 s[4:11], s[0:1], 0x8
	s_wait_kmcnt 0x0
	v_cmp_eq_f64_e64 s2, s[4:5], 1.0
	v_cmp_eq_f64_e64 s3, s[6:7], 0
	s_and_b32 s2, s2, s3
	s_delay_alu instid0(SALU_CYCLE_1)
	s_and_b32 vcc_lo, exec_lo, s2
	s_cbranch_vccnz .LBB53_9
; %bb.1:
	s_load_b32 s16, s[0:1], 0x38
	s_bfe_u32 s2, ttmp6, 0x40014
	s_lshr_b32 s3, ttmp7, 16
	s_add_co_i32 s2, s2, 1
	s_bfe_u32 s13, ttmp6, 0x40008
	s_mul_i32 s12, s3, s2
	s_getreg_b32 s2, hwreg(HW_REG_IB_STS2, 6, 4)
	s_add_co_i32 s13, s13, s12
	s_cmp_eq_u32 s2, 0
	s_cselect_b32 s17, s3, s13
	s_mov_b32 s3, 0
	s_wait_kmcnt 0x0
	s_cmp_ge_u32 s17, s16
	s_cbranch_scc1 .LBB53_9
; %bb.2:
	s_load_b64 s[12:13], s[0:1], 0x28
	s_bfe_u32 s14, ttmp6, 0x40010
	s_bfe_u32 s18, ttmp6, 0x4000c
	s_and_b32 s15, ttmp7, 0xffff
	s_add_co_i32 s14, s14, 1
	s_add_co_i32 s18, s18, 1
	s_mul_i32 s14, s15, s14
	s_bfe_u32 s19, ttmp6, 0x40004
	s_and_b32 s20, ttmp6, 15
	s_mul_i32 s18, ttmp9, s18
	s_add_co_i32 s19, s19, s14
	s_add_co_i32 s20, s20, s18
	v_bfe_u32 v1, v0, 10, 10
	s_cmp_eq_u32 s2, 0
	v_mov_b32_e32 v5, 0
	s_cselect_b32 s2, s15, s19
	s_load_b64 s[14:15], s[0:1], 0x0
	v_lshl_add_u32 v4, s2, 3, v1
	v_cmp_neq_f64_e64 s18, s[4:5], 0
	v_cmp_neq_f64_e64 s19, s[6:7], 0
	v_and_b32_e32 v0, 0x3ff, v0
	s_cselect_b32 s2, ttmp9, s20
	s_wait_kmcnt 0x0
	v_mul_u64_e32 v[2:3], s[12:13], v[4:5]
	s_lshl_b64 s[10:11], s[10:11], 4
	v_mov_b32_e32 v1, v5
	v_lshl_add_u32 v0, s2, 7, v0
	s_add_nc_u64 s[0:1], s[0:1], 64
	s_lshl_b64 s[12:13], s[12:13], 4
	s_delay_alu instid0(VALU_DEP_1) | instskip(SKIP_4) | instid1(VALU_DEP_1)
	v_cmp_gt_u32_e64 s2, s14, v0
	s_or_b32 s18, s18, s19
	v_lshl_add_u64 v[2:3], v[2:3], 4, s[10:11]
	s_ashr_i32 s11, s15, 31
	s_mov_b32 s10, s15
	v_lshl_add_u64 v[6:7], v[0:1], 4, v[2:3]
	s_delay_alu instid0(VALU_DEP_1)
	v_or_b32_e32 v6, 8, v6
	v_cmp_gt_i64_e32 vcc_lo, s[10:11], v[4:5]
	s_and_b32 s19, s2, vcc_lo
	s_branch .LBB53_4
.LBB53_3:                               ;   in Loop: Header=BB53_4 Depth=1
	s_or_b32 exec_lo, exec_lo, s20
	s_add_co_i32 s17, s17, 0x10000
	s_delay_alu instid0(SALU_CYCLE_1)
	s_cmp_lt_u32 s17, s16
	s_cbranch_scc0 .LBB53_9
.LBB53_4:                               ; =>This Loop Header: Depth=1
                                        ;     Child Loop BB53_7 Depth 2
	s_and_saveexec_b32 s20, s19
	s_cbranch_execz .LBB53_3
; %bb.5:                                ;   in Loop: Header=BB53_4 Depth=1
	s_load_b64 s[14:15], s[8:9], s17 offset:0x0 scale_offset
	s_load_b32 s2, s[0:1], 0x4
	v_mov_b64_e32 v[10:11], v[4:5]
	s_mov_b32 s21, 0
	s_wait_kmcnt 0x0
	v_add_nc_u64_e32 v[8:9], s[14:15], v[6:7]
	s_lshl_b32 s2, s2, 3
	s_delay_alu instid0(SALU_CYCLE_1)
	s_mul_u64 s[14:15], s[12:13], s[2:3]
	s_branch .LBB53_7
.LBB53_6:                               ;   in Loop: Header=BB53_7 Depth=2
	v_add_nc_u64_e32 v[10:11], s[2:3], v[10:11]
	flat_store_b128 v[8:9], v[0:3] offset:-8
	s_wait_xcnt 0x0
	v_add_nc_u64_e32 v[8:9], s[14:15], v[8:9]
	v_cmp_le_i64_e32 vcc_lo, s[10:11], v[10:11]
	s_or_b32 s21, vcc_lo, s21
	s_delay_alu instid0(SALU_CYCLE_1)
	s_and_not1_b32 exec_lo, exec_lo, s21
	s_cbranch_execz .LBB53_3
.LBB53_7:                               ;   Parent Loop BB53_4 Depth=1
                                        ; =>  This Inner Loop Header: Depth=2
	v_mov_b64_e32 v[2:3], 0
	v_mov_b64_e32 v[0:1], 0
	s_and_not1_b32 vcc_lo, exec_lo, s18
	s_cbranch_vccnz .LBB53_6
; %bb.8:                                ;   in Loop: Header=BB53_7 Depth=2
	flat_load_b128 v[12:15], v[8:9] offset:-8
	s_wait_loadcnt_dscnt 0x0
	v_mul_f64_e32 v[0:1], s[6:7], v[14:15]
	v_mul_f64_e32 v[2:3], s[4:5], v[14:15]
	s_delay_alu instid0(VALU_DEP_2) | instskip(NEXT) | instid1(VALU_DEP_2)
	v_fma_f64 v[0:1], s[4:5], v[12:13], -v[0:1]
	v_fmac_f64_e32 v[2:3], s[6:7], v[12:13]
	s_branch .LBB53_6
.LBB53_9:
	s_endpgm
	.section	.rodata,"a",@progbits
	.p2align	6, 0x0
	.amdhsa_kernel _ZL25rocblas_symm_scale_kernelILi128ELi8E19rocblas_complex_numIdEPKPS1_EviiT1_T2_llli
		.amdhsa_group_segment_fixed_size 0
		.amdhsa_private_segment_fixed_size 0
		.amdhsa_kernarg_size 320
		.amdhsa_user_sgpr_count 2
		.amdhsa_user_sgpr_dispatch_ptr 0
		.amdhsa_user_sgpr_queue_ptr 0
		.amdhsa_user_sgpr_kernarg_segment_ptr 1
		.amdhsa_user_sgpr_dispatch_id 0
		.amdhsa_user_sgpr_kernarg_preload_length 0
		.amdhsa_user_sgpr_kernarg_preload_offset 0
		.amdhsa_user_sgpr_private_segment_size 0
		.amdhsa_wavefront_size32 1
		.amdhsa_uses_dynamic_stack 0
		.amdhsa_enable_private_segment 0
		.amdhsa_system_sgpr_workgroup_id_x 1
		.amdhsa_system_sgpr_workgroup_id_y 1
		.amdhsa_system_sgpr_workgroup_id_z 1
		.amdhsa_system_sgpr_workgroup_info 0
		.amdhsa_system_vgpr_workitem_id 1
		.amdhsa_next_free_vgpr 16
		.amdhsa_next_free_sgpr 22
		.amdhsa_named_barrier_count 0
		.amdhsa_reserve_vcc 1
		.amdhsa_float_round_mode_32 0
		.amdhsa_float_round_mode_16_64 0
		.amdhsa_float_denorm_mode_32 3
		.amdhsa_float_denorm_mode_16_64 3
		.amdhsa_fp16_overflow 0
		.amdhsa_memory_ordered 1
		.amdhsa_forward_progress 1
		.amdhsa_inst_pref_size 5
		.amdhsa_round_robin_scheduling 0
		.amdhsa_exception_fp_ieee_invalid_op 0
		.amdhsa_exception_fp_denorm_src 0
		.amdhsa_exception_fp_ieee_div_zero 0
		.amdhsa_exception_fp_ieee_overflow 0
		.amdhsa_exception_fp_ieee_underflow 0
		.amdhsa_exception_fp_ieee_inexact 0
		.amdhsa_exception_int_div_zero 0
	.end_amdhsa_kernel
	.section	.text._ZL25rocblas_symm_scale_kernelILi128ELi8E19rocblas_complex_numIdEPKPS1_EviiT1_T2_llli,"axG",@progbits,_ZL25rocblas_symm_scale_kernelILi128ELi8E19rocblas_complex_numIdEPKPS1_EviiT1_T2_llli,comdat
.Lfunc_end53:
	.size	_ZL25rocblas_symm_scale_kernelILi128ELi8E19rocblas_complex_numIdEPKPS1_EviiT1_T2_llli, .Lfunc_end53-_ZL25rocblas_symm_scale_kernelILi128ELi8E19rocblas_complex_numIdEPKPS1_EviiT1_T2_llli
                                        ; -- End function
	.set _ZL25rocblas_symm_scale_kernelILi128ELi8E19rocblas_complex_numIdEPKPS1_EviiT1_T2_llli.num_vgpr, 16
	.set _ZL25rocblas_symm_scale_kernelILi128ELi8E19rocblas_complex_numIdEPKPS1_EviiT1_T2_llli.num_agpr, 0
	.set _ZL25rocblas_symm_scale_kernelILi128ELi8E19rocblas_complex_numIdEPKPS1_EviiT1_T2_llli.numbered_sgpr, 22
	.set _ZL25rocblas_symm_scale_kernelILi128ELi8E19rocblas_complex_numIdEPKPS1_EviiT1_T2_llli.num_named_barrier, 0
	.set _ZL25rocblas_symm_scale_kernelILi128ELi8E19rocblas_complex_numIdEPKPS1_EviiT1_T2_llli.private_seg_size, 0
	.set _ZL25rocblas_symm_scale_kernelILi128ELi8E19rocblas_complex_numIdEPKPS1_EviiT1_T2_llli.uses_vcc, 1
	.set _ZL25rocblas_symm_scale_kernelILi128ELi8E19rocblas_complex_numIdEPKPS1_EviiT1_T2_llli.uses_flat_scratch, 0
	.set _ZL25rocblas_symm_scale_kernelILi128ELi8E19rocblas_complex_numIdEPKPS1_EviiT1_T2_llli.has_dyn_sized_stack, 0
	.set _ZL25rocblas_symm_scale_kernelILi128ELi8E19rocblas_complex_numIdEPKPS1_EviiT1_T2_llli.has_recursion, 0
	.set _ZL25rocblas_symm_scale_kernelILi128ELi8E19rocblas_complex_numIdEPKPS1_EviiT1_T2_llli.has_indirect_call, 0
	.section	.AMDGPU.csdata,"",@progbits
; Kernel info:
; codeLenInByte = 524
; TotalNumSgprs: 24
; NumVgprs: 16
; ScratchSize: 0
; MemoryBound: 0
; FloatMode: 240
; IeeeMode: 1
; LDSByteSize: 0 bytes/workgroup (compile time only)
; SGPRBlocks: 0
; VGPRBlocks: 0
; NumSGPRsForWavesPerEU: 24
; NumVGPRsForWavesPerEU: 16
; NamedBarCnt: 0
; Occupancy: 16
; WaveLimiterHint : 0
; COMPUTE_PGM_RSRC2:SCRATCH_EN: 0
; COMPUTE_PGM_RSRC2:USER_SGPR: 2
; COMPUTE_PGM_RSRC2:TRAP_HANDLER: 0
; COMPUTE_PGM_RSRC2:TGID_X_EN: 1
; COMPUTE_PGM_RSRC2:TGID_Y_EN: 1
; COMPUTE_PGM_RSRC2:TGID_Z_EN: 1
; COMPUTE_PGM_RSRC2:TIDIG_COMP_CNT: 1
	.section	.text._ZL24rocblas_symm_hemm_kernelILb0ELb0ELi32E19rocblas_complex_numIdEPKPKS1_PKPS1_EvbiiT2_T3_lllSA_lllT4_llli,"axG",@progbits,_ZL24rocblas_symm_hemm_kernelILb0ELb0ELi32E19rocblas_complex_numIdEPKPKS1_PKPS1_EvbiiT2_T3_lllSA_lllT4_llli,comdat
	.globl	_ZL24rocblas_symm_hemm_kernelILb0ELb0ELi32E19rocblas_complex_numIdEPKPKS1_PKPS1_EvbiiT2_T3_lllSA_lllT4_llli ; -- Begin function _ZL24rocblas_symm_hemm_kernelILb0ELb0ELi32E19rocblas_complex_numIdEPKPKS1_PKPS1_EvbiiT2_T3_lllSA_lllT4_llli
	.p2align	8
	.type	_ZL24rocblas_symm_hemm_kernelILb0ELb0ELi32E19rocblas_complex_numIdEPKPKS1_PKPS1_EvbiiT2_T3_lllSA_lllT4_llli,@function
_ZL24rocblas_symm_hemm_kernelILb0ELb0ELi32E19rocblas_complex_numIdEPKPKS1_PKPS1_EvbiiT2_T3_lllSA_lllT4_llli: ; @_ZL24rocblas_symm_hemm_kernelILb0ELb0ELi32E19rocblas_complex_numIdEPKPKS1_PKPS1_EvbiiT2_T3_lllSA_lllT4_llli
; %bb.0:
	s_load_b256 s[4:11], s[0:1], 0x10
	s_wait_kmcnt 0x0
	v_cmp_eq_f64_e64 s2, s[4:5], 0
	v_cmp_eq_f64_e64 s3, s[6:7], 0
	s_and_b32 s2, s2, s3
	s_delay_alu instid0(SALU_CYCLE_1)
	s_and_b32 vcc_lo, exec_lo, s2
	s_cbranch_vccnz .LBB54_18
; %bb.1:
	s_load_b32 s3, s[0:1], 0x80
	s_bfe_u32 s2, ttmp6, 0x40014
	s_lshr_b32 s12, ttmp7, 16
	s_add_co_i32 s2, s2, 1
	s_bfe_u32 s14, ttmp6, 0x40008
	s_mul_i32 s13, s12, s2
	s_getreg_b32 s2, hwreg(HW_REG_IB_STS2, 6, 4)
	s_add_co_i32 s14, s14, s13
	s_cmp_eq_u32 s2, 0
	s_cselect_b32 s23, s12, s14
	s_wait_kmcnt 0x0
	s_cmp_ge_u32 s23, s3
	s_cbranch_scc1 .LBB54_18
; %bb.2:
	s_clause 0x5
	s_load_b96 s[20:22], s[0:1], 0x0
	s_load_b64 s[24:25], s[0:1], 0x30
	s_load_b64 s[26:27], s[0:1], 0x50
	s_load_b128 s[12:15], s[0:1], 0x40
	s_load_b64 s[28:29], s[0:1], 0x70
	s_load_b128 s[16:19], s[0:1], 0x60
	s_add_nc_u64 s[30:31], s[0:1], 0x88
	v_and_b32_e32 v18, 0x3ff, v0
	v_bfe_u32 v19, v0, 10, 10
	s_delay_alu instid0(VALU_DEP_1) | instskip(NEXT) | instid1(VALU_DEP_1)
	v_dual_lshlrev_b32 v20, 9, v18 :: v_dual_lshlrev_b32 v0, 4, v19
	v_or_b32_e32 v22, 0x4000, v0
	s_delay_alu instid0(VALU_DEP_2) | instskip(NEXT) | instid1(VALU_DEP_2)
	v_add_nc_u32_e32 v21, v20, v0
	v_add_nc_u32_e32 v23, v22, v20
	s_wait_kmcnt 0x0
	s_bitcmp1_b32 s20, 0
	s_cselect_b32 s0, -1, 0
	s_add_co_i32 s1, s22, -1
	s_bfe_u32 s33, ttmp6, 0x4000c
	s_bfe_u32 s35, ttmp6, 0x40010
	s_ashr_i32 s37, s1, 31
	s_and_b32 s34, ttmp7, 0xffff
	s_add_co_i32 s33, s33, 1
	s_add_co_i32 s35, s35, 1
	s_lshr_b32 s37, s37, 27
	s_and_b32 s20, ttmp6, 15
	s_bfe_u32 s36, ttmp6, 0x40004
	s_mul_i32 s33, ttmp9, s33
	s_mul_i32 s35, s34, s35
	s_add_co_i32 s1, s1, s37
	s_add_co_i32 s33, s20, s33
	;; [unrolled: 1-line block ×3, first 2 shown]
	s_ashr_i32 s20, s1, 5
	s_cmp_eq_u32 s2, 0
	s_cselect_b32 s1, ttmp9, s33
	s_cselect_b32 s33, s34, s36
	v_lshl_add_u32 v8, s1, 5, v18
	s_cmp_le_i32 s33, s20
	s_cselect_b32 s38, -1, 0
	s_cmp_gt_i32 s21, 0
	s_delay_alu instid0(VALU_DEP_1)
	v_cmp_gt_i32_e64 s1, s21, v8
	v_ashrrev_i32_e32 v9, 31, v8
	s_cselect_b32 s39, -1, 0
	s_lshl_b64 s[10:11], s[10:11], 4
	s_lshl_b64 s[14:15], s[14:15], 4
	;; [unrolled: 1-line block ×3, first 2 shown]
	s_branch .LBB54_4
.LBB54_3:                               ;   in Loop: Header=BB54_4 Depth=1
	s_add_co_i32 s23, s23, 0x10000
	s_delay_alu instid0(SALU_CYCLE_1)
	s_cmp_lt_u32 s23, s3
	s_cbranch_scc0 .LBB54_18
.LBB54_4:                               ; =>This Loop Header: Depth=1
                                        ;     Child Loop BB54_7 Depth 2
                                        ;       Child Loop BB54_10 Depth 3
                                        ;         Child Loop BB54_16 Depth 4
	s_and_not1_b32 vcc_lo, exec_lo, s38
	s_cbranch_vccnz .LBB54_3
; %bb.5:                                ;   in Loop: Header=BB54_4 Depth=1
	s_load_b64 s[34:35], s[16:17], s23 offset:0x0 scale_offset
	s_load_b64 s[36:37], s[8:9], s23 offset:0x0 scale_offset
	;; [unrolled: 1-line block ×3, first 2 shown]
	s_load_b32 s40, s[30:31], 0x4
	s_mov_b32 s41, s33
	s_wait_kmcnt 0x0
	s_add_nc_u64 s[34:35], s[34:35], s[18:19]
	s_delay_alu instid0(SALU_CYCLE_1)
	v_lshl_add_u64 v[10:11], v[8:9], 4, s[34:35]
	s_add_nc_u64 s[34:35], s[36:37], s[10:11]
	s_add_nc_u64 s[36:37], s[42:43], s[14:15]
	s_branch .LBB54_7
.LBB54_6:                               ;   in Loop: Header=BB54_7 Depth=2
	s_add_co_i32 s41, s41, s40
	s_delay_alu instid0(SALU_CYCLE_1)
	s_cmp_gt_i32 s41, s20
	s_cbranch_scc1 .LBB54_3
.LBB54_7:                               ;   Parent Loop BB54_4 Depth=1
                                        ; =>  This Loop Header: Depth=2
                                        ;       Child Loop BB54_10 Depth 3
                                        ;         Child Loop BB54_16 Depth 4
	s_and_not1_b32 vcc_lo, exec_lo, s39
	s_cbranch_vccnz .LBB54_6
; %bb.8:                                ;   in Loop: Header=BB54_7 Depth=2
	v_lshl_add_u32 v0, s41, 5, v19
	s_mov_b32 s43, 0
	s_delay_alu instid0(VALU_DEP_1) | instskip(SKIP_1) | instid1(VALU_DEP_2)
	v_ashrrev_i32_e32 v1, 31, v0
	v_cmp_gt_i32_e32 vcc_lo, s22, v0
	v_mul_u64_e32 v[2:3], s[26:27], v[0:1]
	v_mul_u64_e32 v[4:5], s[28:29], v[0:1]
	s_and_b32 s42, s1, vcc_lo
	s_delay_alu instid0(VALU_DEP_2) | instskip(NEXT) | instid1(VALU_DEP_2)
	v_lshl_add_u64 v[12:13], v[2:3], 4, s[36:37]
	v_lshl_add_u64 v[14:15], v[4:5], 4, v[10:11]
	s_branch .LBB54_10
.LBB54_9:                               ;   in Loop: Header=BB54_10 Depth=3
	s_wait_xcnt 0x0
	s_or_b32 exec_lo, exec_lo, s2
	s_add_co_i32 s43, s43, 32
	s_wait_storecnt_dscnt 0x0
	s_cmp_ge_i32 s43, s21
	s_barrier_signal -1
	s_barrier_wait -1
	s_cbranch_scc1 .LBB54_6
.LBB54_10:                              ;   Parent Loop BB54_4 Depth=1
                                        ;     Parent Loop BB54_7 Depth=2
                                        ; =>    This Loop Header: Depth=3
                                        ;         Child Loop BB54_16 Depth 4
	v_add_nc_u32_e32 v0, s43, v19
	v_mov_b64_e32 v[4:5], 0
	v_mov_b64_e32 v[6:7], 0
	s_mov_b32 s44, exec_lo
	s_delay_alu instid0(VALU_DEP_3) | instskip(SKIP_1) | instid1(VALU_DEP_1)
	v_cndmask_b32_e64 v1, v0, v8, s0
	v_cndmask_b32_e64 v2, v8, v0, s0
	v_cmp_gt_i32_e64 s2, v1, v2
	s_delay_alu instid0(VALU_DEP_1) | instskip(SKIP_2) | instid1(VALU_DEP_2)
	v_cndmask_b32_e64 v2, v8, v0, s2
	v_cndmask_b32_e64 v16, v0, v8, s2
	v_mov_b64_e32 v[0:1], 0
	v_max_i32_e32 v3, v2, v16
	s_delay_alu instid0(VALU_DEP_1)
	v_cmpx_gt_i32_e64 s21, v3
	s_cbranch_execz .LBB54_12
; %bb.11:                               ;   in Loop: Header=BB54_10 Depth=3
	v_dual_ashrrev_i32 v17, 31, v16 :: v_dual_ashrrev_i32 v3, 31, v2
	s_delay_alu instid0(VALU_DEP_1) | instskip(NEXT) | instid1(VALU_DEP_1)
	v_mul_u64_e32 v[4:5], s[24:25], v[16:17]
	v_lshl_add_u64 v[4:5], v[4:5], 4, s[34:35]
	s_delay_alu instid0(VALU_DEP_1)
	v_lshl_add_u64 v[2:3], v[2:3], 4, v[4:5]
	flat_load_b128 v[4:7], v[2:3]
.LBB54_12:                              ;   in Loop: Header=BB54_10 Depth=3
	s_wait_xcnt 0x0
	s_or_b32 exec_lo, exec_lo, s44
	v_add_nc_u32_e32 v16, s43, v18
	v_mov_b64_e32 v[2:3], 0
	s_wait_loadcnt_dscnt 0x0
	ds_store_b128 v21, v[4:7]
	v_cmp_gt_i32_e64 s2, s21, v16
	s_and_b32 s44, s2, vcc_lo
	s_delay_alu instid0(SALU_CYCLE_1)
	s_and_saveexec_b32 s2, s44
	s_cbranch_execz .LBB54_14
; %bb.13:                               ;   in Loop: Header=BB54_10 Depth=3
	v_ashrrev_i32_e32 v17, 31, v16
	s_delay_alu instid0(VALU_DEP_1)
	v_lshl_add_u64 v[0:1], v[16:17], 4, v[12:13]
	flat_load_b128 v[0:3], v[0:1]
.LBB54_14:                              ;   in Loop: Header=BB54_10 Depth=3
	s_wait_xcnt 0x0
	s_or_b32 exec_lo, exec_lo, s2
	s_wait_loadcnt_dscnt 0x0
	ds_store_b128 v23, v[0:3]
	s_wait_dscnt 0x0
	s_barrier_signal -1
	s_barrier_wait -1
	s_and_saveexec_b32 s2, s42
	s_cbranch_execz .LBB54_9
; %bb.15:                               ;   in Loop: Header=BB54_10 Depth=3
	v_mov_b64_e32 v[0:1], 0
	v_mov_b64_e32 v[2:3], 0
	v_mov_b32_e32 v4, v22
	s_mov_b32 s44, 0
.LBB54_16:                              ;   Parent Loop BB54_4 Depth=1
                                        ;     Parent Loop BB54_7 Depth=2
                                        ;       Parent Loop BB54_10 Depth=3
                                        ; =>      This Inner Loop Header: Depth=4
	s_delay_alu instid0(SALU_CYCLE_1)
	v_add_nc_u32_e32 v5, s44, v20
	s_addk_co_i32 s44, 0x80
	ds_load_b128 v[24:27], v4
	ds_load_b128 v[28:31], v5
	ds_load_b128 v[32:35], v4 offset:512
	ds_load_b128 v[36:39], v5 offset:16
	s_cmp_eq_u32 s44, 0x200
	s_wait_dscnt 0x2
	v_mul_f64_e32 v[6:7], v[26:27], v[30:31]
	v_mul_f64_e32 v[16:17], v[24:25], v[30:31]
	s_wait_dscnt 0x0
	v_mul_f64_e32 v[46:47], v[34:35], v[38:39]
	v_mul_f64_e32 v[48:49], v[32:33], v[38:39]
	s_delay_alu instid0(VALU_DEP_4) | instskip(NEXT) | instid1(VALU_DEP_4)
	v_fma_f64 v[6:7], v[24:25], v[28:29], -v[6:7]
	v_fmac_f64_e32 v[16:17], v[26:27], v[28:29]
	ds_load_b128 v[24:27], v4 offset:1024
	ds_load_b128 v[28:31], v5 offset:32
	;; [unrolled: 1-line block ×4, first 2 shown]
	v_fmac_f64_e32 v[48:49], v[34:35], v[36:37]
	s_wait_dscnt 0x2
	v_mul_f64_e32 v[50:51], v[26:27], v[30:31]
	v_mul_f64_e32 v[52:53], v[24:25], v[30:31]
	v_fma_f64 v[30:31], v[32:33], v[36:37], -v[46:47]
	v_add_f64_e32 v[0:1], v[0:1], v[6:7]
	v_add_f64_e32 v[2:3], v[2:3], v[16:17]
	s_wait_dscnt 0x0
	v_mul_f64_e32 v[6:7], v[40:41], v[44:45]
	v_mul_f64_e32 v[16:17], v[38:39], v[44:45]
	v_fma_f64 v[36:37], v[24:25], v[28:29], -v[50:51]
	v_fmac_f64_e32 v[52:53], v[26:27], v[28:29]
	v_add_f64_e32 v[44:45], v[0:1], v[30:31]
	v_add_f64_e32 v[46:47], v[2:3], v[48:49]
	ds_load_b128 v[0:3], v4 offset:2048
	ds_load_b128 v[24:27], v5 offset:64
	;; [unrolled: 1-line block ×4, first 2 shown]
	v_fma_f64 v[6:7], v[38:39], v[42:43], -v[6:7]
	v_fmac_f64_e32 v[16:17], v[40:41], v[42:43]
	s_wait_dscnt 0x2
	v_mul_f64_e32 v[48:49], v[2:3], v[26:27]
	v_mul_f64_e32 v[50:51], v[0:1], v[26:27]
	s_wait_dscnt 0x0
	v_mul_f64_e32 v[42:43], v[30:31], v[34:35]
	v_add_f64_e32 v[26:27], v[44:45], v[36:37]
	v_add_f64_e32 v[36:37], v[46:47], v[52:53]
	v_mul_f64_e32 v[44:45], v[28:29], v[34:35]
	v_fma_f64 v[46:47], v[0:1], v[24:25], -v[48:49]
	v_fmac_f64_e32 v[50:51], v[2:3], v[24:25]
	v_fma_f64 v[28:29], v[28:29], v[32:33], -v[42:43]
	v_add_f64_e32 v[6:7], v[26:27], v[6:7]
	v_add_f64_e32 v[16:17], v[36:37], v[16:17]
	ds_load_b128 v[0:3], v4 offset:3072
	ds_load_b128 v[24:27], v5 offset:96
	;; [unrolled: 1-line block ×4, first 2 shown]
	v_fmac_f64_e32 v[44:45], v[30:31], v[32:33]
	v_add_nc_u32_e32 v4, 0x1000, v4
	s_wait_dscnt 0x2
	v_mul_f64_e32 v[48:49], v[2:3], v[26:27]
	v_mul_f64_e32 v[26:27], v[0:1], v[26:27]
	s_wait_dscnt 0x0
	v_mul_f64_e32 v[30:31], v[36:37], v[40:41]
	v_mul_f64_e32 v[32:33], v[34:35], v[40:41]
	v_add_f64_e32 v[6:7], v[6:7], v[46:47]
	v_add_f64_e32 v[16:17], v[16:17], v[50:51]
	v_fma_f64 v[0:1], v[0:1], v[24:25], -v[48:49]
	v_fmac_f64_e32 v[26:27], v[2:3], v[24:25]
	v_fmac_f64_e32 v[32:33], v[36:37], v[38:39]
	v_add_f64_e32 v[2:3], v[6:7], v[28:29]
	v_add_f64_e32 v[6:7], v[16:17], v[44:45]
	v_fma_f64 v[16:17], v[34:35], v[38:39], -v[30:31]
	s_delay_alu instid0(VALU_DEP_3) | instskip(NEXT) | instid1(VALU_DEP_3)
	v_add_f64_e32 v[0:1], v[2:3], v[0:1]
	v_add_f64_e32 v[2:3], v[6:7], v[26:27]
	s_delay_alu instid0(VALU_DEP_2) | instskip(NEXT) | instid1(VALU_DEP_2)
	v_add_f64_e32 v[0:1], v[0:1], v[16:17]
	v_add_f64_e32 v[2:3], v[2:3], v[32:33]
	s_cbranch_scc0 .LBB54_16
; %bb.17:                               ;   in Loop: Header=BB54_10 Depth=3
	flat_load_b128 v[4:7], v[14:15]
	v_mul_f64_e32 v[16:17], s[6:7], v[2:3]
	v_mul_f64_e32 v[24:25], s[6:7], v[0:1]
	s_delay_alu instid0(VALU_DEP_2) | instskip(NEXT) | instid1(VALU_DEP_2)
	v_fma_f64 v[0:1], s[4:5], v[0:1], -v[16:17]
	v_fmac_f64_e32 v[24:25], s[4:5], v[2:3]
	s_wait_loadcnt_dscnt 0x0
	s_delay_alu instid0(VALU_DEP_2) | instskip(NEXT) | instid1(VALU_DEP_2)
	v_add_f64_e32 v[0:1], v[0:1], v[4:5]
	v_add_f64_e32 v[2:3], v[24:25], v[6:7]
	flat_store_b128 v[14:15], v[0:3]
	s_branch .LBB54_9
.LBB54_18:
	s_endpgm
	.section	.rodata,"a",@progbits
	.p2align	6, 0x0
	.amdhsa_kernel _ZL24rocblas_symm_hemm_kernelILb0ELb0ELi32E19rocblas_complex_numIdEPKPKS1_PKPS1_EvbiiT2_T3_lllSA_lllT4_llli
		.amdhsa_group_segment_fixed_size 32768
		.amdhsa_private_segment_fixed_size 0
		.amdhsa_kernarg_size 392
		.amdhsa_user_sgpr_count 2
		.amdhsa_user_sgpr_dispatch_ptr 0
		.amdhsa_user_sgpr_queue_ptr 0
		.amdhsa_user_sgpr_kernarg_segment_ptr 1
		.amdhsa_user_sgpr_dispatch_id 0
		.amdhsa_user_sgpr_kernarg_preload_length 0
		.amdhsa_user_sgpr_kernarg_preload_offset 0
		.amdhsa_user_sgpr_private_segment_size 0
		.amdhsa_wavefront_size32 1
		.amdhsa_uses_dynamic_stack 0
		.amdhsa_enable_private_segment 0
		.amdhsa_system_sgpr_workgroup_id_x 1
		.amdhsa_system_sgpr_workgroup_id_y 1
		.amdhsa_system_sgpr_workgroup_id_z 1
		.amdhsa_system_sgpr_workgroup_info 0
		.amdhsa_system_vgpr_workitem_id 1
		.amdhsa_next_free_vgpr 54
		.amdhsa_next_free_sgpr 45
		.amdhsa_named_barrier_count 0
		.amdhsa_reserve_vcc 1
		.amdhsa_float_round_mode_32 0
		.amdhsa_float_round_mode_16_64 0
		.amdhsa_float_denorm_mode_32 3
		.amdhsa_float_denorm_mode_16_64 3
		.amdhsa_fp16_overflow 0
		.amdhsa_memory_ordered 1
		.amdhsa_forward_progress 1
		.amdhsa_inst_pref_size 11
		.amdhsa_round_robin_scheduling 0
		.amdhsa_exception_fp_ieee_invalid_op 0
		.amdhsa_exception_fp_denorm_src 0
		.amdhsa_exception_fp_ieee_div_zero 0
		.amdhsa_exception_fp_ieee_overflow 0
		.amdhsa_exception_fp_ieee_underflow 0
		.amdhsa_exception_fp_ieee_inexact 0
		.amdhsa_exception_int_div_zero 0
	.end_amdhsa_kernel
	.section	.text._ZL24rocblas_symm_hemm_kernelILb0ELb0ELi32E19rocblas_complex_numIdEPKPKS1_PKPS1_EvbiiT2_T3_lllSA_lllT4_llli,"axG",@progbits,_ZL24rocblas_symm_hemm_kernelILb0ELb0ELi32E19rocblas_complex_numIdEPKPKS1_PKPS1_EvbiiT2_T3_lllSA_lllT4_llli,comdat
.Lfunc_end54:
	.size	_ZL24rocblas_symm_hemm_kernelILb0ELb0ELi32E19rocblas_complex_numIdEPKPKS1_PKPS1_EvbiiT2_T3_lllSA_lllT4_llli, .Lfunc_end54-_ZL24rocblas_symm_hemm_kernelILb0ELb0ELi32E19rocblas_complex_numIdEPKPKS1_PKPS1_EvbiiT2_T3_lllSA_lllT4_llli
                                        ; -- End function
	.set _ZL24rocblas_symm_hemm_kernelILb0ELb0ELi32E19rocblas_complex_numIdEPKPKS1_PKPS1_EvbiiT2_T3_lllSA_lllT4_llli.num_vgpr, 54
	.set _ZL24rocblas_symm_hemm_kernelILb0ELb0ELi32E19rocblas_complex_numIdEPKPKS1_PKPS1_EvbiiT2_T3_lllSA_lllT4_llli.num_agpr, 0
	.set _ZL24rocblas_symm_hemm_kernelILb0ELb0ELi32E19rocblas_complex_numIdEPKPKS1_PKPS1_EvbiiT2_T3_lllSA_lllT4_llli.numbered_sgpr, 45
	.set _ZL24rocblas_symm_hemm_kernelILb0ELb0ELi32E19rocblas_complex_numIdEPKPKS1_PKPS1_EvbiiT2_T3_lllSA_lllT4_llli.num_named_barrier, 0
	.set _ZL24rocblas_symm_hemm_kernelILb0ELb0ELi32E19rocblas_complex_numIdEPKPKS1_PKPS1_EvbiiT2_T3_lllSA_lllT4_llli.private_seg_size, 0
	.set _ZL24rocblas_symm_hemm_kernelILb0ELb0ELi32E19rocblas_complex_numIdEPKPKS1_PKPS1_EvbiiT2_T3_lllSA_lllT4_llli.uses_vcc, 1
	.set _ZL24rocblas_symm_hemm_kernelILb0ELb0ELi32E19rocblas_complex_numIdEPKPKS1_PKPS1_EvbiiT2_T3_lllSA_lllT4_llli.uses_flat_scratch, 0
	.set _ZL24rocblas_symm_hemm_kernelILb0ELb0ELi32E19rocblas_complex_numIdEPKPKS1_PKPS1_EvbiiT2_T3_lllSA_lllT4_llli.has_dyn_sized_stack, 0
	.set _ZL24rocblas_symm_hemm_kernelILb0ELb0ELi32E19rocblas_complex_numIdEPKPKS1_PKPS1_EvbiiT2_T3_lllSA_lllT4_llli.has_recursion, 0
	.set _ZL24rocblas_symm_hemm_kernelILb0ELb0ELi32E19rocblas_complex_numIdEPKPKS1_PKPS1_EvbiiT2_T3_lllSA_lllT4_llli.has_indirect_call, 0
	.section	.AMDGPU.csdata,"",@progbits
; Kernel info:
; codeLenInByte = 1368
; TotalNumSgprs: 47
; NumVgprs: 54
; ScratchSize: 0
; MemoryBound: 1
; FloatMode: 240
; IeeeMode: 1
; LDSByteSize: 32768 bytes/workgroup (compile time only)
; SGPRBlocks: 0
; VGPRBlocks: 3
; NumSGPRsForWavesPerEU: 47
; NumVGPRsForWavesPerEU: 54
; NamedBarCnt: 0
; Occupancy: 16
; WaveLimiterHint : 1
; COMPUTE_PGM_RSRC2:SCRATCH_EN: 0
; COMPUTE_PGM_RSRC2:USER_SGPR: 2
; COMPUTE_PGM_RSRC2:TRAP_HANDLER: 0
; COMPUTE_PGM_RSRC2:TGID_X_EN: 1
; COMPUTE_PGM_RSRC2:TGID_Y_EN: 1
; COMPUTE_PGM_RSRC2:TGID_Z_EN: 1
; COMPUTE_PGM_RSRC2:TIDIG_COMP_CNT: 1
	.section	.text._ZL24rocblas_symm_hemm_kernelILb0ELb1ELi32E19rocblas_complex_numIdEPKPKS1_PKPS1_EvbiiT2_T3_lllSA_lllT4_llli,"axG",@progbits,_ZL24rocblas_symm_hemm_kernelILb0ELb1ELi32E19rocblas_complex_numIdEPKPKS1_PKPS1_EvbiiT2_T3_lllSA_lllT4_llli,comdat
	.globl	_ZL24rocblas_symm_hemm_kernelILb0ELb1ELi32E19rocblas_complex_numIdEPKPKS1_PKPS1_EvbiiT2_T3_lllSA_lllT4_llli ; -- Begin function _ZL24rocblas_symm_hemm_kernelILb0ELb1ELi32E19rocblas_complex_numIdEPKPKS1_PKPS1_EvbiiT2_T3_lllSA_lllT4_llli
	.p2align	8
	.type	_ZL24rocblas_symm_hemm_kernelILb0ELb1ELi32E19rocblas_complex_numIdEPKPKS1_PKPS1_EvbiiT2_T3_lllSA_lllT4_llli,@function
_ZL24rocblas_symm_hemm_kernelILb0ELb1ELi32E19rocblas_complex_numIdEPKPKS1_PKPS1_EvbiiT2_T3_lllSA_lllT4_llli: ; @_ZL24rocblas_symm_hemm_kernelILb0ELb1ELi32E19rocblas_complex_numIdEPKPKS1_PKPS1_EvbiiT2_T3_lllSA_lllT4_llli
; %bb.0:
	s_load_b256 s[4:11], s[0:1], 0x10
	s_wait_kmcnt 0x0
	v_cmp_eq_f64_e64 s2, s[4:5], 0
	v_cmp_eq_f64_e64 s3, s[6:7], 0
	s_and_b32 s2, s2, s3
	s_delay_alu instid0(SALU_CYCLE_1)
	s_and_b32 vcc_lo, exec_lo, s2
	s_cbranch_vccnz .LBB55_18
; %bb.1:
	s_load_b32 s23, s[0:1], 0x80
	s_bfe_u32 s2, ttmp6, 0x40014
	s_lshr_b32 s12, ttmp7, 16
	s_add_co_i32 s2, s2, 1
	s_bfe_u32 s13, ttmp6, 0x40008
	s_mul_i32 s2, s12, s2
	s_getreg_b32 s3, hwreg(HW_REG_IB_STS2, 6, 4)
	s_add_co_i32 s13, s13, s2
	s_cmp_eq_u32 s3, 0
	s_cselect_b32 s30, s12, s13
	s_wait_kmcnt 0x0
	s_cmp_ge_u32 s30, s23
	s_cbranch_scc1 .LBB55_18
; %bb.2:
	s_clause 0x3
	s_load_b96 s[20:22], s[0:1], 0x0
	s_load_b64 s[24:25], s[0:1], 0x30
	s_load_b64 s[26:27], s[0:1], 0x50
	s_load_b128 s[12:15], s[0:1], 0x40
	v_and_b32_e32 v22, 0x3ff, v0
	s_clause 0x1
	s_load_b64 s[28:29], s[0:1], 0x70
	s_load_b128 s[16:19], s[0:1], 0x60
	v_bfe_u32 v23, v0, 10, 10
	s_wait_xcnt 0x0
	s_add_nc_u64 s[0:1], s[0:1], 0x88
	s_delay_alu instid0(VALU_DEP_1) | instskip(NEXT) | instid1(VALU_DEP_1)
	v_dual_lshlrev_b32 v24, 9, v22 :: v_dual_lshlrev_b32 v2, 4, v23
	v_or_b32_e32 v25, 0x4000, v2
	s_delay_alu instid0(VALU_DEP_2) | instskip(SKIP_2) | instid1(VALU_DEP_2)
	v_add_nc_u32_e32 v26, v24, v2
	s_wait_kmcnt 0x0
	s_bitcmp1_b32 s20, 0
	v_add_nc_u32_e32 v27, v25, v24
	s_cselect_b32 s2, -1, 0
	s_add_co_i32 s20, s22, -1
	s_bfe_u32 s33, ttmp6, 0x4000c
	s_bfe_u32 s35, ttmp6, 0x40010
	s_ashr_i32 s37, s20, 31
	s_and_b32 s34, ttmp7, 0xffff
	s_add_co_i32 s33, s33, 1
	s_add_co_i32 s35, s35, 1
	s_lshr_b32 s37, s37, 27
	s_and_b32 s31, ttmp6, 15
	s_bfe_u32 s36, ttmp6, 0x40004
	s_mul_i32 s33, ttmp9, s33
	s_mul_i32 s35, s34, s35
	s_add_co_i32 s20, s20, s37
	s_add_co_i32 s33, s31, s33
	;; [unrolled: 1-line block ×3, first 2 shown]
	s_ashr_i32 s31, s20, 5
	s_cmp_eq_u32 s3, 0
	s_cselect_b32 s3, ttmp9, s33
	s_cselect_b32 s33, s34, s36
	v_lshl_add_u32 v0, s3, 5, v22
	s_cmp_le_i32 s33, s31
	s_cselect_b32 s34, -1, 0
	s_cmp_gt_i32 s22, 0
	s_delay_alu instid0(VALU_DEP_1)
	v_ashrrev_i32_e32 v1, 31, v0
	v_cmp_gt_i32_e64 s3, s21, v0
	s_cselect_b32 s35, -1, 0
	s_lshl_b64 s[10:11], s[10:11], 4
	s_lshl_b64 s[18:19], s[18:19], 4
	v_lshlrev_b64_e32 v[8:9], 4, v[0:1]
	s_lshl_b64 s[14:15], s[14:15], 4
	s_branch .LBB55_4
.LBB55_3:                               ;   in Loop: Header=BB55_4 Depth=1
	s_add_co_i32 s30, s30, 0x10000
	s_delay_alu instid0(SALU_CYCLE_1)
	s_cmp_lt_u32 s30, s23
	s_cbranch_scc0 .LBB55_18
.LBB55_4:                               ; =>This Loop Header: Depth=1
                                        ;     Child Loop BB55_7 Depth 2
                                        ;       Child Loop BB55_10 Depth 3
                                        ;         Child Loop BB55_16 Depth 4
	s_and_not1_b32 vcc_lo, exec_lo, s34
	s_cbranch_vccnz .LBB55_3
; %bb.5:                                ;   in Loop: Header=BB55_4 Depth=1
	s_load_b64 s[20:21], s[12:13], s30 offset:0x0 scale_offset
	s_load_b64 s[38:39], s[16:17], s30 offset:0x0 scale_offset
	;; [unrolled: 1-line block ×3, first 2 shown]
	s_load_b32 s36, s[0:1], 0x4
	s_mov_b32 s37, s33
	s_wait_kmcnt 0x0
	s_add_nc_u64 s[20:21], s[20:21], s[14:15]
	s_add_nc_u64 s[38:39], s[38:39], s[18:19]
	v_add_nc_u64_e32 v[10:11], s[20:21], v[8:9]
	v_add_nc_u64_e32 v[12:13], s[38:39], v[8:9]
	s_add_nc_u64 s[20:21], s[40:41], s[10:11]
	s_branch .LBB55_7
.LBB55_6:                               ;   in Loop: Header=BB55_7 Depth=2
	s_add_co_i32 s37, s37, s36
	s_delay_alu instid0(SALU_CYCLE_1)
	s_cmp_gt_i32 s37, s31
	s_cbranch_scc1 .LBB55_3
.LBB55_7:                               ;   Parent Loop BB55_4 Depth=1
                                        ; =>  This Loop Header: Depth=2
                                        ;       Child Loop BB55_10 Depth 3
                                        ;         Child Loop BB55_16 Depth 4
	s_and_not1_b32 vcc_lo, exec_lo, s35
	s_cbranch_vccnz .LBB55_6
; %bb.8:                                ;   in Loop: Header=BB55_7 Depth=2
	v_lshl_add_u32 v14, s37, 5, v23
	s_mov_b32 s39, 0
	s_delay_alu instid0(VALU_DEP_1) | instskip(SKIP_1) | instid1(VALU_DEP_2)
	v_ashrrev_i32_e32 v15, 31, v14
	v_cmp_gt_i32_e32 vcc_lo, s22, v14
	v_mul_u64_e32 v[0:1], s[28:29], v[14:15]
	s_and_b32 s38, s3, vcc_lo
	s_delay_alu instid0(VALU_DEP_1)
	v_lshl_add_u64 v[16:17], v[0:1], 4, v[12:13]
	s_branch .LBB55_10
.LBB55_9:                               ;   in Loop: Header=BB55_10 Depth=3
	s_wait_xcnt 0x0
	s_or_b32 exec_lo, exec_lo, s40
	s_add_co_i32 s39, s39, 32
	s_wait_storecnt_dscnt 0x0
	s_cmp_ge_i32 s39, s22
	s_barrier_signal -1
	s_barrier_wait -1
	s_cbranch_scc1 .LBB55_6
.LBB55_10:                              ;   Parent Loop BB55_4 Depth=1
                                        ;     Parent Loop BB55_7 Depth=2
                                        ; =>    This Loop Header: Depth=3
                                        ;         Child Loop BB55_16 Depth 4
	v_add_nc_u32_e32 v2, s39, v23
	v_mov_b64_e32 v[0:1], 0
	v_mov_b64_e32 v[4:5], 0
	;; [unrolled: 1-line block ×3, first 2 shown]
	s_delay_alu instid0(VALU_DEP_4) | instskip(SKIP_1) | instid1(SALU_CYCLE_1)
	v_cmp_gt_i32_e32 vcc_lo, s22, v2
	s_and_b32 s41, s3, vcc_lo
	s_and_saveexec_b32 s40, s41
	s_cbranch_execz .LBB55_12
; %bb.11:                               ;   in Loop: Header=BB55_10 Depth=3
	v_ashrrev_i32_e32 v3, 31, v2
	s_delay_alu instid0(VALU_DEP_1) | instskip(NEXT) | instid1(VALU_DEP_1)
	v_mul_u64_e32 v[2:3], s[26:27], v[2:3]
	v_lshl_add_u64 v[2:3], v[2:3], 4, v[10:11]
	flat_load_b128 v[4:7], v[2:3]
.LBB55_12:                              ;   in Loop: Header=BB55_10 Depth=3
	s_wait_xcnt 0x0
	s_or_b32 exec_lo, exec_lo, s40
	v_add_nc_u32_e32 v2, s39, v22
	s_mov_b32 s40, exec_lo
	s_wait_loadcnt_dscnt 0x0
	ds_store_b128 v26, v[4:7]
	v_cndmask_b32_e64 v3, v14, v2, s2
	v_cndmask_b32_e64 v15, v2, v14, s2
	s_delay_alu instid0(VALU_DEP_1) | instskip(SKIP_3) | instid1(VALU_DEP_2)
	v_cmp_gt_i32_e32 vcc_lo, v3, v15
	v_cndmask_b32_e32 v18, v2, v14, vcc_lo
	v_cndmask_b32_e32 v20, v14, v2, vcc_lo
	v_mov_b64_e32 v[2:3], 0
	v_max_i32_e32 v15, v18, v20
	s_delay_alu instid0(VALU_DEP_1)
	v_cmpx_gt_i32_e64 s22, v15
	s_cbranch_execz .LBB55_14
; %bb.13:                               ;   in Loop: Header=BB55_10 Depth=3
	v_dual_ashrrev_i32 v21, 31, v20 :: v_dual_ashrrev_i32 v19, 31, v18
	s_delay_alu instid0(VALU_DEP_1) | instskip(NEXT) | instid1(VALU_DEP_1)
	v_mul_u64_e32 v[0:1], s[24:25], v[20:21]
	v_lshl_add_u64 v[0:1], v[0:1], 4, s[20:21]
	s_delay_alu instid0(VALU_DEP_1)
	v_lshl_add_u64 v[0:1], v[18:19], 4, v[0:1]
	flat_load_b128 v[0:3], v[0:1]
.LBB55_14:                              ;   in Loop: Header=BB55_10 Depth=3
	s_wait_xcnt 0x0
	s_or_b32 exec_lo, exec_lo, s40
	s_wait_loadcnt_dscnt 0x0
	ds_store_b128 v27, v[0:3]
	s_wait_dscnt 0x0
	s_barrier_signal -1
	s_barrier_wait -1
	s_and_saveexec_b32 s40, s38
	s_cbranch_execz .LBB55_9
; %bb.15:                               ;   in Loop: Header=BB55_10 Depth=3
	v_mov_b64_e32 v[0:1], 0
	v_mov_b64_e32 v[2:3], 0
	v_mov_b32_e32 v4, v25
	s_mov_b32 s41, 0
.LBB55_16:                              ;   Parent Loop BB55_4 Depth=1
                                        ;     Parent Loop BB55_7 Depth=2
                                        ;       Parent Loop BB55_10 Depth=3
                                        ; =>      This Inner Loop Header: Depth=4
	s_delay_alu instid0(SALU_CYCLE_1)
	v_add_nc_u32_e32 v5, s41, v24
	s_addk_co_i32 s41, 0x80
	ds_load_b128 v[18:21], v4
	ds_load_b128 v[28:31], v5
	ds_load_b128 v[32:35], v4 offset:512
	ds_load_b128 v[36:39], v5 offset:16
	s_cmp_eq_u32 s41, 0x200
	s_wait_dscnt 0x2
	v_mul_f64_e32 v[6:7], v[20:21], v[30:31]
	v_mul_f64_e32 v[46:47], v[18:19], v[30:31]
	s_wait_dscnt 0x0
	v_mul_f64_e32 v[48:49], v[34:35], v[38:39]
	v_mul_f64_e32 v[50:51], v[32:33], v[38:39]
	s_delay_alu instid0(VALU_DEP_4) | instskip(NEXT) | instid1(VALU_DEP_4)
	v_fma_f64 v[6:7], v[18:19], v[28:29], -v[6:7]
	v_fmac_f64_e32 v[46:47], v[20:21], v[28:29]
	ds_load_b128 v[18:21], v4 offset:1024
	ds_load_b128 v[28:31], v5 offset:32
	;; [unrolled: 1-line block ×4, first 2 shown]
	v_fmac_f64_e32 v[50:51], v[34:35], v[36:37]
	s_wait_dscnt 0x2
	v_mul_f64_e32 v[52:53], v[20:21], v[30:31]
	v_mul_f64_e32 v[54:55], v[18:19], v[30:31]
	v_fma_f64 v[30:31], v[32:33], v[36:37], -v[48:49]
	s_wait_dscnt 0x0
	v_mul_f64_e32 v[36:37], v[38:39], v[44:45]
	v_add_f64_e32 v[0:1], v[0:1], v[6:7]
	v_add_f64_e32 v[2:3], v[2:3], v[46:47]
	v_mul_f64_e32 v[6:7], v[40:41], v[44:45]
	v_fma_f64 v[44:45], v[18:19], v[28:29], -v[52:53]
	v_fmac_f64_e32 v[54:55], v[20:21], v[28:29]
	v_fmac_f64_e32 v[36:37], v[40:41], v[42:43]
	v_add_f64_e32 v[46:47], v[0:1], v[30:31]
	v_add_f64_e32 v[48:49], v[2:3], v[50:51]
	ds_load_b128 v[0:3], v4 offset:2048
	ds_load_b128 v[18:21], v5 offset:64
	;; [unrolled: 1-line block ×4, first 2 shown]
	v_fma_f64 v[6:7], v[38:39], v[42:43], -v[6:7]
	s_wait_dscnt 0x2
	v_mul_f64_e32 v[50:51], v[2:3], v[20:21]
	v_mul_f64_e32 v[52:53], v[0:1], v[20:21]
	s_wait_dscnt 0x0
	v_mul_f64_e32 v[42:43], v[30:31], v[34:35]
	v_add_f64_e32 v[20:21], v[46:47], v[44:45]
	v_add_f64_e32 v[38:39], v[48:49], v[54:55]
	v_mul_f64_e32 v[44:45], v[28:29], v[34:35]
	v_fma_f64 v[46:47], v[0:1], v[18:19], -v[50:51]
	v_fmac_f64_e32 v[52:53], v[2:3], v[18:19]
	v_fma_f64 v[28:29], v[28:29], v[32:33], -v[42:43]
	v_add_f64_e32 v[6:7], v[20:21], v[6:7]
	v_add_f64_e32 v[48:49], v[38:39], v[36:37]
	ds_load_b128 v[0:3], v4 offset:3072
	ds_load_b128 v[18:21], v5 offset:96
	;; [unrolled: 1-line block ×4, first 2 shown]
	v_fmac_f64_e32 v[44:45], v[30:31], v[32:33]
	v_add_nc_u32_e32 v4, 0x1000, v4
	s_wait_dscnt 0x2
	v_mul_f64_e32 v[50:51], v[2:3], v[20:21]
	v_mul_f64_e32 v[20:21], v[0:1], v[20:21]
	s_wait_dscnt 0x0
	v_mul_f64_e32 v[32:33], v[36:37], v[40:41]
	v_mul_f64_e32 v[40:41], v[34:35], v[40:41]
	v_add_f64_e32 v[6:7], v[6:7], v[46:47]
	v_add_f64_e32 v[30:31], v[48:49], v[52:53]
	v_fma_f64 v[0:1], v[0:1], v[18:19], -v[50:51]
	v_fmac_f64_e32 v[20:21], v[2:3], v[18:19]
	v_fma_f64 v[18:19], v[34:35], v[38:39], -v[32:33]
	v_fmac_f64_e32 v[40:41], v[36:37], v[38:39]
	v_add_f64_e32 v[2:3], v[6:7], v[28:29]
	v_add_f64_e32 v[6:7], v[30:31], v[44:45]
	s_delay_alu instid0(VALU_DEP_2) | instskip(NEXT) | instid1(VALU_DEP_2)
	v_add_f64_e32 v[0:1], v[2:3], v[0:1]
	v_add_f64_e32 v[2:3], v[6:7], v[20:21]
	s_delay_alu instid0(VALU_DEP_2) | instskip(NEXT) | instid1(VALU_DEP_2)
	v_add_f64_e32 v[0:1], v[0:1], v[18:19]
	v_add_f64_e32 v[2:3], v[2:3], v[40:41]
	s_cbranch_scc0 .LBB55_16
; %bb.17:                               ;   in Loop: Header=BB55_10 Depth=3
	flat_load_b128 v[4:7], v[16:17]
	v_mul_f64_e32 v[18:19], s[6:7], v[2:3]
	v_mul_f64_e32 v[20:21], s[6:7], v[0:1]
	s_delay_alu instid0(VALU_DEP_2) | instskip(NEXT) | instid1(VALU_DEP_2)
	v_fma_f64 v[0:1], s[4:5], v[0:1], -v[18:19]
	v_fmac_f64_e32 v[20:21], s[4:5], v[2:3]
	s_wait_loadcnt_dscnt 0x0
	s_delay_alu instid0(VALU_DEP_2) | instskip(NEXT) | instid1(VALU_DEP_2)
	v_add_f64_e32 v[0:1], v[0:1], v[4:5]
	v_add_f64_e32 v[2:3], v[20:21], v[6:7]
	flat_store_b128 v[16:17], v[0:3]
	s_branch .LBB55_9
.LBB55_18:
	s_endpgm
	.section	.rodata,"a",@progbits
	.p2align	6, 0x0
	.amdhsa_kernel _ZL24rocblas_symm_hemm_kernelILb0ELb1ELi32E19rocblas_complex_numIdEPKPKS1_PKPS1_EvbiiT2_T3_lllSA_lllT4_llli
		.amdhsa_group_segment_fixed_size 32768
		.amdhsa_private_segment_fixed_size 0
		.amdhsa_kernarg_size 392
		.amdhsa_user_sgpr_count 2
		.amdhsa_user_sgpr_dispatch_ptr 0
		.amdhsa_user_sgpr_queue_ptr 0
		.amdhsa_user_sgpr_kernarg_segment_ptr 1
		.amdhsa_user_sgpr_dispatch_id 0
		.amdhsa_user_sgpr_kernarg_preload_length 0
		.amdhsa_user_sgpr_kernarg_preload_offset 0
		.amdhsa_user_sgpr_private_segment_size 0
		.amdhsa_wavefront_size32 1
		.amdhsa_uses_dynamic_stack 0
		.amdhsa_enable_private_segment 0
		.amdhsa_system_sgpr_workgroup_id_x 1
		.amdhsa_system_sgpr_workgroup_id_y 1
		.amdhsa_system_sgpr_workgroup_id_z 1
		.amdhsa_system_sgpr_workgroup_info 0
		.amdhsa_system_vgpr_workitem_id 1
		.amdhsa_next_free_vgpr 56
		.amdhsa_next_free_sgpr 42
		.amdhsa_named_barrier_count 0
		.amdhsa_reserve_vcc 1
		.amdhsa_float_round_mode_32 0
		.amdhsa_float_round_mode_16_64 0
		.amdhsa_float_denorm_mode_32 3
		.amdhsa_float_denorm_mode_16_64 3
		.amdhsa_fp16_overflow 0
		.amdhsa_memory_ordered 1
		.amdhsa_forward_progress 1
		.amdhsa_inst_pref_size 11
		.amdhsa_round_robin_scheduling 0
		.amdhsa_exception_fp_ieee_invalid_op 0
		.amdhsa_exception_fp_denorm_src 0
		.amdhsa_exception_fp_ieee_div_zero 0
		.amdhsa_exception_fp_ieee_overflow 0
		.amdhsa_exception_fp_ieee_underflow 0
		.amdhsa_exception_fp_ieee_inexact 0
		.amdhsa_exception_int_div_zero 0
	.end_amdhsa_kernel
	.section	.text._ZL24rocblas_symm_hemm_kernelILb0ELb1ELi32E19rocblas_complex_numIdEPKPKS1_PKPS1_EvbiiT2_T3_lllSA_lllT4_llli,"axG",@progbits,_ZL24rocblas_symm_hemm_kernelILb0ELb1ELi32E19rocblas_complex_numIdEPKPKS1_PKPS1_EvbiiT2_T3_lllSA_lllT4_llli,comdat
.Lfunc_end55:
	.size	_ZL24rocblas_symm_hemm_kernelILb0ELb1ELi32E19rocblas_complex_numIdEPKPKS1_PKPS1_EvbiiT2_T3_lllSA_lllT4_llli, .Lfunc_end55-_ZL24rocblas_symm_hemm_kernelILb0ELb1ELi32E19rocblas_complex_numIdEPKPKS1_PKPS1_EvbiiT2_T3_lllSA_lllT4_llli
                                        ; -- End function
	.set _ZL24rocblas_symm_hemm_kernelILb0ELb1ELi32E19rocblas_complex_numIdEPKPKS1_PKPS1_EvbiiT2_T3_lllSA_lllT4_llli.num_vgpr, 56
	.set _ZL24rocblas_symm_hemm_kernelILb0ELb1ELi32E19rocblas_complex_numIdEPKPKS1_PKPS1_EvbiiT2_T3_lllSA_lllT4_llli.num_agpr, 0
	.set _ZL24rocblas_symm_hemm_kernelILb0ELb1ELi32E19rocblas_complex_numIdEPKPKS1_PKPS1_EvbiiT2_T3_lllSA_lllT4_llli.numbered_sgpr, 42
	.set _ZL24rocblas_symm_hemm_kernelILb0ELb1ELi32E19rocblas_complex_numIdEPKPKS1_PKPS1_EvbiiT2_T3_lllSA_lllT4_llli.num_named_barrier, 0
	.set _ZL24rocblas_symm_hemm_kernelILb0ELb1ELi32E19rocblas_complex_numIdEPKPKS1_PKPS1_EvbiiT2_T3_lllSA_lllT4_llli.private_seg_size, 0
	.set _ZL24rocblas_symm_hemm_kernelILb0ELb1ELi32E19rocblas_complex_numIdEPKPKS1_PKPS1_EvbiiT2_T3_lllSA_lllT4_llli.uses_vcc, 1
	.set _ZL24rocblas_symm_hemm_kernelILb0ELb1ELi32E19rocblas_complex_numIdEPKPKS1_PKPS1_EvbiiT2_T3_lllSA_lllT4_llli.uses_flat_scratch, 0
	.set _ZL24rocblas_symm_hemm_kernelILb0ELb1ELi32E19rocblas_complex_numIdEPKPKS1_PKPS1_EvbiiT2_T3_lllSA_lllT4_llli.has_dyn_sized_stack, 0
	.set _ZL24rocblas_symm_hemm_kernelILb0ELb1ELi32E19rocblas_complex_numIdEPKPKS1_PKPS1_EvbiiT2_T3_lllSA_lllT4_llli.has_recursion, 0
	.set _ZL24rocblas_symm_hemm_kernelILb0ELb1ELi32E19rocblas_complex_numIdEPKPKS1_PKPS1_EvbiiT2_T3_lllSA_lllT4_llli.has_indirect_call, 0
	.section	.AMDGPU.csdata,"",@progbits
; Kernel info:
; codeLenInByte = 1348
; TotalNumSgprs: 44
; NumVgprs: 56
; ScratchSize: 0
; MemoryBound: 1
; FloatMode: 240
; IeeeMode: 1
; LDSByteSize: 32768 bytes/workgroup (compile time only)
; SGPRBlocks: 0
; VGPRBlocks: 3
; NumSGPRsForWavesPerEU: 44
; NumVGPRsForWavesPerEU: 56
; NamedBarCnt: 0
; Occupancy: 16
; WaveLimiterHint : 1
; COMPUTE_PGM_RSRC2:SCRATCH_EN: 0
; COMPUTE_PGM_RSRC2:USER_SGPR: 2
; COMPUTE_PGM_RSRC2:TRAP_HANDLER: 0
; COMPUTE_PGM_RSRC2:TGID_X_EN: 1
; COMPUTE_PGM_RSRC2:TGID_Y_EN: 1
; COMPUTE_PGM_RSRC2:TGID_Z_EN: 1
; COMPUTE_PGM_RSRC2:TIDIG_COMP_CNT: 1
	.section	.text._ZL24rocblas_symm_hemm_kernelILb1ELb0ELi32EPK19rocblas_complex_numIfEPKS3_PKPS1_EvbiiT2_T3_lllSA_lllT4_llli,"axG",@progbits,_ZL24rocblas_symm_hemm_kernelILb1ELb0ELi32EPK19rocblas_complex_numIfEPKS3_PKPS1_EvbiiT2_T3_lllSA_lllT4_llli,comdat
	.globl	_ZL24rocblas_symm_hemm_kernelILb1ELb0ELi32EPK19rocblas_complex_numIfEPKS3_PKPS1_EvbiiT2_T3_lllSA_lllT4_llli ; -- Begin function _ZL24rocblas_symm_hemm_kernelILb1ELb0ELi32EPK19rocblas_complex_numIfEPKS3_PKPS1_EvbiiT2_T3_lllSA_lllT4_llli
	.p2align	8
	.type	_ZL24rocblas_symm_hemm_kernelILb1ELb0ELi32EPK19rocblas_complex_numIfEPKS3_PKPS1_EvbiiT2_T3_lllSA_lllT4_llli,@function
_ZL24rocblas_symm_hemm_kernelILb1ELb0ELi32EPK19rocblas_complex_numIfEPKS3_PKPS1_EvbiiT2_T3_lllSA_lllT4_llli: ; @_ZL24rocblas_symm_hemm_kernelILb1ELb0ELi32EPK19rocblas_complex_numIfEPKS3_PKPS1_EvbiiT2_T3_lllSA_lllT4_llli
; %bb.0:
	s_load_b256 s[4:11], s[0:1], 0x10
	s_wait_kmcnt 0x0
	s_load_b64 s[24:25], s[4:5], 0x0
	s_wait_kmcnt 0x0
	s_cmp_eq_f32 s24, 0
	s_cselect_b32 s2, -1, 0
	s_cmp_eq_f32 s25, 0
	s_cselect_b32 s3, -1, 0
	s_delay_alu instid0(SALU_CYCLE_1) | instskip(NEXT) | instid1(SALU_CYCLE_1)
	s_and_b32 s2, s2, s3
	s_and_b32 vcc_lo, exec_lo, s2
	s_cbranch_vccnz .LBB56_24
; %bb.1:
	s_load_b32 s23, s[0:1], 0x78
	s_bfe_u32 s2, ttmp6, 0x40014
	s_lshr_b32 s4, ttmp7, 16
	s_add_co_i32 s2, s2, 1
	s_bfe_u32 s5, ttmp6, 0x40008
	s_mul_i32 s2, s4, s2
	s_getreg_b32 s3, hwreg(HW_REG_IB_STS2, 6, 4)
	s_add_co_i32 s5, s5, s2
	s_cmp_eq_u32 s3, 0
	s_cselect_b32 s33, s4, s5
	s_wait_kmcnt 0x0
	s_cmp_ge_u32 s33, s23
	s_cbranch_scc1 .LBB56_24
; %bb.2:
	s_clause 0x1
	s_load_b96 s[20:22], s[0:1], 0x0
	s_load_b128 s[12:15], s[0:1], 0x38
	v_and_b32_e32 v26, 0x3ff, v0
	v_bfe_u32 v27, v0, 10, 10
	s_add_nc_u64 s[28:29], s[0:1], 0x80
	s_mov_b32 s30, s25
	s_mov_b32 s31, s24
	s_delay_alu instid0(VALU_DEP_1) | instskip(NEXT) | instid1(VALU_DEP_1)
	v_dual_lshlrev_b32 v28, 8, v26 :: v_dual_lshlrev_b32 v0, 3, v27
	v_or_b32_e32 v29, 0x2000, v0
	s_delay_alu instid0(VALU_DEP_2) | instskip(NEXT) | instid1(VALU_DEP_2)
	v_add_nc_u32_e32 v30, v28, v0
	v_add_nc_u32_e32 v31, v29, v28
	;; [unrolled: 1-line block ×3, first 2 shown]
	s_wait_kmcnt 0x0
	s_bitcmp1_b32 s20, 0
	v_add_nc_u32_e32 v33, 0x1800, v29
	s_cselect_b32 s2, -1, 0
	s_add_co_i32 s4, s22, -1
	s_bfe_u32 s16, ttmp6, 0x4000c
	s_bfe_u32 s17, ttmp6, 0x40010
	s_ashr_i32 s19, s4, 31
	s_and_b32 s34, ttmp7, 0xffff
	s_add_co_i32 s16, s16, 1
	s_add_co_i32 s17, s17, 1
	s_lshr_b32 s19, s19, 27
	s_and_b32 s5, ttmp6, 15
	s_bfe_u32 s18, ttmp6, 0x40004
	s_mul_i32 s16, ttmp9, s16
	s_mul_i32 s17, s34, s17
	s_add_co_i32 s4, s4, s19
	s_add_co_i32 s5, s5, s16
	;; [unrolled: 1-line block ×3, first 2 shown]
	s_ashr_i32 s20, s4, 5
	s_cmp_eq_u32 s3, 0
	s_clause 0x1
	s_load_b64 s[26:27], s[0:1], 0x48
	s_load_b128 s[16:19], s[0:1], 0x58
	s_cselect_b32 s3, ttmp9, s5
	s_load_b64 s[4:5], s[0:1], 0x68
	v_lshl_add_u32 v2, s3, 5, v26
	s_cselect_b32 s34, s34, s35
	s_delay_alu instid0(SALU_CYCLE_1) | instskip(NEXT) | instid1(VALU_DEP_1)
	s_cmp_le_i32 s34, s20
	v_ashrrev_i32_e32 v3, 31, v2
	s_wait_xcnt 0x0
	v_cmp_gt_i32_e64 s0, s21, v2
	s_cselect_b32 s35, -1, 0
	s_cmp_gt_i32 s21, 0
	v_mul_u64_e32 v[4:5], s[10:11], v[2:3]
	v_lshlrev_b64_e32 v[0:1], 3, v[2:3]
	v_add_nc_u32_e32 v3, 0x800, v29
	s_cselect_b32 s36, -1, 0
	s_lshl_b64 s[14:15], s[14:15], 3
	s_lshl_b64 s[8:9], s[8:9], 3
	s_wait_kmcnt 0x0
	s_lshl_b64 s[18:19], s[18:19], 3
	s_delay_alu instid0(VALU_DEP_3)
	v_lshlrev_b64_e32 v[4:5], 3, v[4:5]
	s_branch .LBB56_4
.LBB56_3:                               ;   in Loop: Header=BB56_4 Depth=1
	s_add_co_i32 s33, s33, 0x10000
	s_delay_alu instid0(SALU_CYCLE_1)
	s_cmp_lt_u32 s33, s23
	s_cbranch_scc0 .LBB56_24
.LBB56_4:                               ; =>This Loop Header: Depth=1
                                        ;     Child Loop BB56_7 Depth 2
                                        ;       Child Loop BB56_10 Depth 3
	s_and_not1_b32 vcc_lo, exec_lo, s35
	s_cbranch_vccnz .LBB56_3
; %bb.5:                                ;   in Loop: Header=BB56_4 Depth=1
	v_mov_b32_e32 v12, s33
	s_mov_b32 s38, s34
	s_clause 0x2
	global_load_b64 v[6:7], v12, s[6:7] scale_offset
	global_load_b64 v[8:9], v12, s[16:17] scale_offset
	global_load_b64 v[10:11], v12, s[12:13] scale_offset
	s_load_b32 s37, s[28:29], 0x4
	s_wait_loadcnt 0x2
	v_add_nc_u64_e32 v[12:13], s[8:9], v[6:7]
	s_wait_loadcnt 0x1
	v_add_nc_u64_e32 v[14:15], s[18:19], v[8:9]
	;; [unrolled: 2-line block ×3, first 2 shown]
	s_delay_alu instid0(VALU_DEP_3) | instskip(SKIP_1) | instid1(VALU_DEP_4)
	v_add_nc_u64_e32 v[6:7], v[12:13], v[0:1]
	v_add_nc_u64_e32 v[10:11], v[12:13], v[4:5]
	v_add_nc_u64_e32 v[12:13], v[14:15], v[0:1]
	s_delay_alu instid0(VALU_DEP_3)
	v_add_nc_u64_e32 v[14:15], v[6:7], v[4:5]
	s_branch .LBB56_7
.LBB56_6:                               ;   in Loop: Header=BB56_7 Depth=2
	s_wait_kmcnt 0x0
	s_add_co_i32 s38, s38, s37
	s_delay_alu instid0(SALU_CYCLE_1)
	s_cmp_gt_i32 s38, s20
	s_cbranch_scc1 .LBB56_3
.LBB56_7:                               ;   Parent Loop BB56_4 Depth=1
                                        ; =>  This Loop Header: Depth=2
                                        ;       Child Loop BB56_10 Depth 3
	s_and_not1_b32 vcc_lo, exec_lo, s36
	s_cbranch_vccnz .LBB56_6
; %bb.8:                                ;   in Loop: Header=BB56_7 Depth=2
	v_lshl_add_u32 v16, s38, 5, v27
	s_mov_b32 s40, 0
	s_delay_alu instid0(VALU_DEP_1) | instskip(SKIP_1) | instid1(VALU_DEP_2)
	v_ashrrev_i32_e32 v17, 31, v16
	v_cmp_gt_i32_e32 vcc_lo, s22, v16
	v_mul_u64_e32 v[18:19], s[26:27], v[16:17]
	v_mul_u64_e32 v[20:21], s[4:5], v[16:17]
	s_and_b32 s39, s0, vcc_lo
	s_delay_alu instid0(VALU_DEP_2) | instskip(NEXT) | instid1(VALU_DEP_2)
	v_lshl_add_u64 v[16:17], v[18:19], 3, v[8:9]
	v_lshl_add_u64 v[18:19], v[20:21], 3, v[12:13]
	s_branch .LBB56_10
.LBB56_9:                               ;   in Loop: Header=BB56_10 Depth=3
	s_wait_xcnt 0x0
	s_or_b32 exec_lo, exec_lo, s1
	s_add_co_i32 s40, s40, 32
	s_wait_storecnt_dscnt 0x0
	s_cmp_ge_i32 s40, s21
	s_barrier_signal -1
	s_barrier_wait -1
	s_cbranch_scc1 .LBB56_6
.LBB56_10:                              ;   Parent Loop BB56_4 Depth=1
                                        ;     Parent Loop BB56_7 Depth=2
                                        ; =>    This Inner Loop Header: Depth=3
	v_add_nc_u32_e32 v24, s40, v27
	s_mov_b32 s41, exec_lo
	s_delay_alu instid0(VALU_DEP_1) | instskip(NEXT) | instid1(VALU_DEP_1)
	v_dual_cndmask_b32 v21, v24, v2, s2 :: v_dual_cndmask_b32 v23, v2, v24, s2
	v_cmp_gt_i32_e64 s1, v21, v23
	s_delay_alu instid0(VALU_DEP_1) | instskip(SKIP_1) | instid1(VALU_DEP_2)
	v_dual_cndmask_b32 v20, v2, v24, s1 :: v_dual_cndmask_b32 v22, v24, v2, s1
	v_cmp_le_i32_e64 s1, v21, v23
	v_dual_mov_b32 v23, 0 :: v_dual_max_i32 v25, v20, v22
	v_dual_mov_b32 v20, 0 :: v_dual_mov_b32 v22, 0
	s_delay_alu instid0(VALU_DEP_2)
	v_cmpx_gt_i32_e64 s21, v25
	s_cbranch_execz .LBB56_20
; %bb.11:                               ;   in Loop: Header=BB56_10 Depth=3
                                        ; implicit-def: $vgpr23
	s_and_saveexec_b32 s3, s1
	s_delay_alu instid0(SALU_CYCLE_1)
	s_xor_b32 s3, exec_lo, s3
	s_cbranch_execz .LBB56_17
; %bb.12:                               ;   in Loop: Header=BB56_10 Depth=3
	v_cmp_ne_u32_e64 s1, v24, v2
                                        ; implicit-def: $vgpr23
	s_and_saveexec_b32 s42, s1
	s_delay_alu instid0(SALU_CYCLE_1)
	s_xor_b32 s1, exec_lo, s42
	s_cbranch_execz .LBB56_14
; %bb.13:                               ;   in Loop: Header=BB56_10 Depth=3
	v_ashrrev_i32_e32 v25, 31, v24
	s_delay_alu instid0(VALU_DEP_1) | instskip(NEXT) | instid1(VALU_DEP_1)
	v_mul_u64_e32 v[22:23], s[10:11], v[24:25]
	v_lshl_add_u64 v[22:23], v[22:23], 3, v[6:7]
	flat_load_b64 v[22:23], v[22:23]
.LBB56_14:                              ;   in Loop: Header=BB56_10 Depth=3
	s_wait_xcnt 0x0
	s_and_not1_saveexec_b32 s1, s1
	s_cbranch_execz .LBB56_16
; %bb.15:                               ;   in Loop: Header=BB56_10 Depth=3
	s_wait_loadcnt_dscnt 0x0
	flat_load_b32 v22, v[14:15]
	v_mov_b32_e32 v23, 0
.LBB56_16:                              ;   in Loop: Header=BB56_10 Depth=3
	s_wait_xcnt 0x0
	s_or_b32 exec_lo, exec_lo, s1
                                        ; implicit-def: $vgpr24
.LBB56_17:                              ;   in Loop: Header=BB56_10 Depth=3
	s_and_not1_saveexec_b32 s1, s3
	s_cbranch_execz .LBB56_19
; %bb.18:                               ;   in Loop: Header=BB56_10 Depth=3
	v_ashrrev_i32_e32 v25, 31, v24
	s_wait_loadcnt_dscnt 0x0
	s_delay_alu instid0(VALU_DEP_1)
	v_lshl_add_u64 v[22:23], v[24:25], 3, v[10:11]
	flat_load_b64 v[22:23], v[22:23]
	s_wait_loadcnt_dscnt 0x0
	v_xor_b32_e32 v23, 0x80000000, v23
.LBB56_19:                              ;   in Loop: Header=BB56_10 Depth=3
	s_or_b32 exec_lo, exec_lo, s1
.LBB56_20:                              ;   in Loop: Header=BB56_10 Depth=3
	s_delay_alu instid0(SALU_CYCLE_1)
	s_or_b32 exec_lo, exec_lo, s41
	v_dual_mov_b32 v21, 0 :: v_dual_add_nc_u32 v24, s40, v26
	s_wait_loadcnt_dscnt 0x0
	ds_store_b64 v30, v[22:23]
	v_cmp_gt_i32_e64 s1, s21, v24
	s_and_b32 s3, s1, vcc_lo
	s_delay_alu instid0(SALU_CYCLE_1)
	s_and_saveexec_b32 s1, s3
	s_cbranch_execz .LBB56_22
; %bb.21:                               ;   in Loop: Header=BB56_10 Depth=3
	v_ashrrev_i32_e32 v25, 31, v24
	s_delay_alu instid0(VALU_DEP_1)
	v_lshl_add_u64 v[20:21], v[24:25], 3, v[16:17]
	flat_load_b64 v[20:21], v[20:21]
.LBB56_22:                              ;   in Loop: Header=BB56_10 Depth=3
	s_wait_xcnt 0x0
	s_or_b32 exec_lo, exec_lo, s1
	s_wait_loadcnt_dscnt 0x0
	ds_store_b64 v31, v[20:21]
	s_wait_dscnt 0x0
	s_barrier_signal -1
	s_barrier_wait -1
	s_and_saveexec_b32 s1, s39
	s_cbranch_execz .LBB56_9
; %bb.23:                               ;   in Loop: Header=BB56_10 Depth=3
	flat_load_b64 v[20:21], v[18:19]
	ds_load_2addr_b64 v[22:25], v29 offset1:32
	ds_load_b128 v[34:37], v28
	ds_load_b128 v[38:41], v28 offset:16
	ds_load_2addr_b64 v[42:45], v29 offset0:64 offset1:96
	ds_load_b128 v[46:49], v28 offset:32
	s_wait_dscnt 0x3
	v_dual_mul_f32 v50, v23, v35 :: v_dual_mul_f32 v35, v22, v35
	s_wait_dscnt 0x1
	v_dual_mul_f32 v55, v43, v39 :: v_dual_mul_f32 v39, v42, v39
	s_delay_alu instid0(VALU_DEP_2)
	v_dual_fma_f32 v22, v22, v34, -v50 :: v_dual_fmac_f32 v35, v23, v34
	v_dual_mul_f32 v23, v25, v37 :: v_dual_mul_f32 v34, v24, v37
	ds_load_2addr_b64 v[50:53], v29 offset0:128 offset1:160
	v_dual_add_f32 v37, 0, v22 :: v_dual_add_f32 v35, 0, v35
	v_dual_fma_f32 v54, v24, v36, -v23 :: v_dual_fmac_f32 v34, v25, v36
	ds_load_b128 v[22:25], v28 offset:48
	v_fmac_f32_e32 v39, v43, v38
	v_add_f32_e32 v36, v37, v54
	v_dual_fma_f32 v37, v42, v38, -v55 :: v_dual_mul_f32 v38, v45, v41
	v_dual_mul_f32 v41, v44, v41 :: v_dual_add_f32 v42, v35, v34
	s_delay_alu instid0(VALU_DEP_2) | instskip(SKIP_4) | instid1(VALU_DEP_2)
	v_add_f32_e32 v43, v36, v37
	ds_load_2addr_b64 v[34:37], v29 offset0:192 offset1:224
	v_dual_fma_f32 v38, v44, v40, -v38 :: v_dual_add_f32 v39, v42, v39
	s_wait_dscnt 0x2
	v_dual_fmac_f32 v41, v45, v40 :: v_dual_mul_f32 v40, v51, v47
	v_dual_mul_f32 v47, v50, v47 :: v_dual_add_f32 v54, v43, v38
	s_delay_alu instid0(VALU_DEP_2) | instskip(SKIP_4) | instid1(VALU_DEP_2)
	v_dual_add_f32 v55, v39, v41 :: v_dual_fma_f32 v50, v50, v46, -v40
	ds_load_b128 v[38:41], v28 offset:64
	ds_load_2addr_b64 v[42:45], v3 offset1:32
	v_dual_fmac_f32 v47, v51, v46 :: v_dual_mul_f32 v46, v53, v49
	v_dual_mul_f32 v49, v52, v49 :: v_dual_add_f32 v50, v54, v50
	v_dual_add_f32 v47, v55, v47 :: v_dual_fma_f32 v46, v52, v48, -v46
	s_wait_dscnt 0x2
	s_delay_alu instid0(VALU_DEP_2) | instskip(SKIP_1) | instid1(VALU_DEP_2)
	v_dual_fmac_f32 v49, v53, v48 :: v_dual_mul_f32 v48, v35, v23
	v_mul_f32_e32 v23, v34, v23
	v_dual_add_f32 v54, v50, v46 :: v_dual_add_f32 v55, v47, v49
	s_delay_alu instid0(VALU_DEP_2)
	v_dual_fma_f32 v34, v34, v22, -v48 :: v_dual_fmac_f32 v23, v35, v22
	v_dual_mul_f32 v22, v37, v25 :: v_dual_mul_f32 v25, v36, v25
	ds_load_b128 v[46:49], v28 offset:80
	ds_load_2addr_b64 v[50:53], v3 offset0:64 offset1:96
	s_wait_dscnt 0x2
	v_dual_add_f32 v34, v54, v34 :: v_dual_mul_f32 v35, v43, v39
	v_dual_fma_f32 v22, v36, v24, -v22 :: v_dual_add_f32 v23, v55, v23
	v_dual_fmac_f32 v25, v37, v24 :: v_dual_mul_f32 v39, v42, v39
	s_delay_alu instid0(VALU_DEP_3) | instskip(NEXT) | instid1(VALU_DEP_2)
	v_fma_f32 v24, v42, v38, -v35
	v_dual_add_f32 v22, v34, v22 :: v_dual_add_f32 v42, v23, v25
	s_delay_alu instid0(VALU_DEP_3) | instskip(NEXT) | instid1(VALU_DEP_2)
	v_dual_fmac_f32 v39, v43, v38 :: v_dual_mul_f32 v38, v45, v41
	v_add_f32_e32 v43, v22, v24
	ds_load_b128 v[22:25], v28 offset:96
	ds_load_2addr_b64 v[34:37], v3 offset0:128 offset1:160
	v_dual_mul_f32 v41, v44, v41 :: v_dual_fma_f32 v38, v44, v40, -v38
	v_add_f32_e32 v39, v42, v39
	s_wait_dscnt 0x2
	s_delay_alu instid0(VALU_DEP_2) | instskip(NEXT) | instid1(VALU_DEP_3)
	v_dual_mul_f32 v44, v51, v47 :: v_dual_fmac_f32 v41, v45, v40
	v_dual_add_f32 v38, v43, v38 :: v_dual_mul_f32 v47, v50, v47
	s_delay_alu instid0(VALU_DEP_2) | instskip(NEXT) | instid1(VALU_DEP_3)
	v_dual_fma_f32 v40, v50, v46, -v44 :: v_dual_mul_f32 v42, v53, v49
	v_add_f32_e32 v50, v39, v41
	s_delay_alu instid0(VALU_DEP_3) | instskip(NEXT) | instid1(VALU_DEP_3)
	v_dual_fmac_f32 v47, v51, v46 :: v_dual_mul_f32 v49, v52, v49
	v_add_f32_e32 v46, v38, v40
	s_delay_alu instid0(VALU_DEP_4) | instskip(SKIP_4) | instid1(VALU_DEP_1)
	v_fma_f32 v51, v52, v48, -v42
	ds_load_b128 v[38:41], v28 offset:112
	ds_load_2addr_b64 v[42:45], v3 offset0:192 offset1:224
	s_wait_dscnt 0x2
	v_dual_mul_f32 v52, v35, v23 :: v_dual_fmac_f32 v49, v53, v48
	v_dual_mul_f32 v23, v34, v23 :: v_dual_fma_f32 v34, v34, v22, -v52
	s_delay_alu instid0(VALU_DEP_1) | instskip(NEXT) | instid1(VALU_DEP_1)
	v_dual_add_f32 v47, v50, v47 :: v_dual_fmac_f32 v23, v35, v22
	v_dual_add_f32 v46, v46, v51 :: v_dual_add_f32 v54, v47, v49
	s_delay_alu instid0(VALU_DEP_1) | instskip(NEXT) | instid1(VALU_DEP_2)
	v_dual_add_f32 v22, v46, v34 :: v_dual_mul_f32 v34, v37, v25
	v_dual_mul_f32 v25, v36, v25 :: v_dual_add_f32 v23, v54, v23
	ds_load_b128 v[46:49], v28 offset:128
	ds_load_2addr_b64 v[50:53], v32 offset1:32
	v_dual_fma_f32 v34, v36, v24, -v34 :: v_dual_fmac_f32 v25, v37, v24
	s_wait_dscnt 0x2
	v_dual_mul_f32 v24, v43, v39 :: v_dual_mul_f32 v39, v42, v39
	s_delay_alu instid0(VALU_DEP_2) | instskip(NEXT) | instid1(VALU_DEP_2)
	v_dual_add_f32 v54, v22, v34 :: v_dual_add_f32 v55, v23, v25
	v_dual_fma_f32 v42, v42, v38, -v24 :: v_dual_fmac_f32 v39, v43, v38
	ds_load_b128 v[22:25], v28 offset:144
	ds_load_2addr_b64 v[34:37], v32 offset0:64 offset1:96
	v_dual_mul_f32 v38, v45, v41 :: v_dual_mul_f32 v41, v44, v41
	v_dual_add_f32 v42, v54, v42 :: v_dual_add_f32 v39, v55, v39
	s_delay_alu instid0(VALU_DEP_2) | instskip(SKIP_2) | instid1(VALU_DEP_2)
	v_dual_fma_f32 v38, v44, v40, -v38 :: v_dual_fmac_f32 v41, v45, v40
	s_wait_dscnt 0x2
	v_dual_mul_f32 v40, v51, v47 :: v_dual_mul_f32 v47, v50, v47
	v_dual_add_f32 v54, v42, v38 :: v_dual_add_f32 v55, v39, v41
	s_delay_alu instid0(VALU_DEP_2)
	v_dual_fma_f32 v50, v50, v46, -v40 :: v_dual_fmac_f32 v47, v51, v46
	v_dual_mul_f32 v46, v53, v49 :: v_dual_mul_f32 v49, v52, v49
	ds_load_b128 v[38:41], v28 offset:160
	ds_load_2addr_b64 v[42:45], v32 offset0:128 offset1:160
	s_wait_dscnt 0x2
	v_dual_add_f32 v50, v54, v50 :: v_dual_mul_f32 v51, v35, v23
	v_dual_fma_f32 v46, v52, v48, -v46 :: v_dual_add_f32 v47, v55, v47
	v_dual_fmac_f32 v49, v53, v48 :: v_dual_mul_f32 v23, v34, v23
	s_delay_alu instid0(VALU_DEP_3) | instskip(NEXT) | instid1(VALU_DEP_2)
	v_fma_f32 v34, v34, v22, -v51
	v_dual_add_f32 v46, v50, v46 :: v_dual_add_f32 v54, v47, v49
	s_delay_alu instid0(VALU_DEP_3) | instskip(NEXT) | instid1(VALU_DEP_2)
	v_dual_fmac_f32 v23, v35, v22 :: v_dual_mul_f32 v22, v37, v25
	v_add_f32_e32 v34, v46, v34
	ds_load_b128 v[46:49], v28 offset:176
	ds_load_2addr_b64 v[50:53], v32 offset0:192 offset1:224
	v_dual_mul_f32 v25, v36, v25 :: v_dual_add_f32 v23, v54, v23
	s_wait_dscnt 0x2
	v_dual_fma_f32 v22, v36, v24, -v22 :: v_dual_mul_f32 v35, v43, v39
	s_delay_alu instid0(VALU_DEP_1) | instskip(SKIP_1) | instid1(VALU_DEP_2)
	v_dual_fmac_f32 v25, v37, v24 :: v_dual_add_f32 v22, v34, v22
	v_dual_mul_f32 v39, v42, v39 :: v_dual_mul_f32 v34, v45, v41
	v_dual_fma_f32 v24, v42, v38, -v35 :: v_dual_add_f32 v42, v23, v25
	s_delay_alu instid0(VALU_DEP_2) | instskip(NEXT) | instid1(VALU_DEP_3)
	v_dual_mul_f32 v41, v44, v41 :: v_dual_fmac_f32 v39, v43, v38
	v_fma_f32 v43, v44, v40, -v34
	s_delay_alu instid0(VALU_DEP_3) | instskip(SKIP_4) | instid1(VALU_DEP_1)
	v_add_f32_e32 v38, v22, v24
	ds_load_b128 v[22:25], v28 offset:192
	ds_load_2addr_b64 v[34:37], v33 offset1:32
	s_wait_dscnt 0x2
	v_dual_fmac_f32 v41, v45, v40 :: v_dual_mul_f32 v44, v51, v47
	v_dual_mul_f32 v47, v50, v47 :: v_dual_fma_f32 v40, v50, v46, -v44
	s_delay_alu instid0(VALU_DEP_1) | instskip(SKIP_1) | instid1(VALU_DEP_2)
	v_dual_add_f32 v39, v42, v39 :: v_dual_fmac_f32 v47, v51, v46
	v_dual_add_f32 v38, v38, v43 :: v_dual_mul_f32 v51, v53, v49
	v_add_f32_e32 v50, v39, v41
	s_delay_alu instid0(VALU_DEP_2)
	v_dual_mul_f32 v49, v52, v49 :: v_dual_add_f32 v46, v38, v40
	ds_load_b128 v[38:41], v28 offset:208
	ds_load_2addr_b64 v[42:45], v33 offset0:64 offset1:96
	v_dual_add_f32 v47, v50, v47 :: v_dual_fma_f32 v50, v52, v48, -v51
	s_wait_dscnt 0x2
	v_dual_fmac_f32 v49, v53, v48 :: v_dual_mul_f32 v48, v35, v23
	v_mul_f32_e32 v23, v34, v23
	s_delay_alu instid0(VALU_DEP_2) | instskip(NEXT) | instid1(VALU_DEP_2)
	v_dual_add_f32 v54, v46, v50 :: v_dual_add_f32 v55, v47, v49
	v_dual_fma_f32 v34, v34, v22, -v48 :: v_dual_fmac_f32 v23, v35, v22
	v_dual_mul_f32 v22, v37, v25 :: v_dual_mul_f32 v25, v36, v25
	ds_load_b128 v[46:49], v28 offset:224
	ds_load_2addr_b64 v[50:53], v33 offset0:128 offset1:160
	v_dual_add_f32 v34, v54, v34 :: v_dual_add_f32 v23, v55, v23
	v_dual_fma_f32 v22, v36, v24, -v22 :: v_dual_fmac_f32 v25, v37, v24
	s_wait_dscnt 0x2
	v_dual_mul_f32 v54, v42, v39 :: v_dual_mul_f32 v39, v43, v39
	s_delay_alu instid0(VALU_DEP_2) | instskip(SKIP_4) | instid1(VALU_DEP_2)
	v_dual_add_f32 v55, v34, v22 :: v_dual_add_f32 v56, v23, v25
	ds_load_b128 v[22:25], v28 offset:240
	ds_load_2addr_b64 v[34:37], v33 offset0:192 offset1:224
	v_dual_fmac_f32 v54, v43, v38 :: v_dual_mul_f32 v43, v44, v41
	v_dual_fma_f32 v38, v42, v38, -v39 :: v_dual_mul_f32 v41, v45, v41
	v_dual_add_f32 v39, v56, v54 :: v_dual_fmac_f32 v43, v45, v40
	s_delay_alu instid0(VALU_DEP_2) | instskip(SKIP_2) | instid1(VALU_DEP_3)
	v_dual_add_f32 v38, v55, v38 :: v_dual_fma_f32 v40, v44, v40, -v41
	s_wait_dscnt 0x2
	v_dual_mul_f32 v42, v50, v47 :: v_dual_mul_f32 v41, v51, v47
	v_dual_add_f32 v39, v39, v43 :: v_dual_mul_f32 v43, v52, v49
	s_delay_alu instid0(VALU_DEP_2) | instskip(NEXT) | instid1(VALU_DEP_3)
	v_dual_add_f32 v38, v38, v40 :: v_dual_fmac_f32 v42, v51, v46
	v_dual_fma_f32 v40, v50, v46, -v41 :: v_dual_mul_f32 v41, v53, v49
	s_delay_alu instid0(VALU_DEP_2) | instskip(SKIP_2) | instid1(VALU_DEP_3)
	v_dual_fmac_f32 v43, v53, v48 :: v_dual_add_f32 v39, v39, v42
	s_wait_dscnt 0x0
	v_mul_f32_e32 v42, v34, v23
	v_add_f32_e32 v38, v38, v40
	v_dual_fma_f32 v40, v52, v48, -v41 :: v_dual_mul_f32 v23, v35, v23
	v_add_f32_e32 v39, v39, v43
	s_delay_alu instid0(VALU_DEP_4) | instskip(NEXT) | instid1(VALU_DEP_3)
	v_dual_fmac_f32 v42, v35, v22 :: v_dual_mul_f32 v35, v36, v25
	v_add_f32_e32 v38, v38, v40
	s_delay_alu instid0(VALU_DEP_4) | instskip(NEXT) | instid1(VALU_DEP_3)
	v_dual_fma_f32 v22, v34, v22, -v23 :: v_dual_mul_f32 v25, v37, v25
	v_dual_add_f32 v23, v39, v42 :: v_dual_fmac_f32 v35, v37, v24
	s_delay_alu instid0(VALU_DEP_2) | instskip(SKIP_1) | instid1(VALU_DEP_2)
	v_dual_add_f32 v34, v38, v22 :: v_dual_fma_f32 v36, v36, v24, -v25
	v_mov_b64_e32 v[24:25], s[30:31]
	v_dual_add_f32 v22, v23, v35 :: v_dual_add_f32 v34, v34, v36
	s_delay_alu instid0(VALU_DEP_1) | instskip(SKIP_1) | instid1(VALU_DEP_1)
	v_pk_mul_f32 v[22:23], v[24:25], v[22:23] op_sel_hi:[1,0]
	v_mov_b64_e32 v[24:25], s[24:25]
	v_pk_fma_f32 v[36:37], v[24:25], v[34:35], v[22:23] op_sel_hi:[1,0,1]
	v_pk_fma_f32 v[22:23], v[24:25], v[34:35], v[22:23] neg_lo:[0,0,1] neg_hi:[0,0,1]
	s_delay_alu instid0(VALU_DEP_2) | instskip(SKIP_1) | instid1(VALU_DEP_1)
	v_mov_b32_e32 v23, v37
	s_wait_loadcnt 0x0
	v_pk_add_f32 v[20:21], v[20:21], v[22:23]
	flat_store_b64 v[18:19], v[20:21]
	s_branch .LBB56_9
.LBB56_24:
	s_endpgm
	.section	.rodata,"a",@progbits
	.p2align	6, 0x0
	.amdhsa_kernel _ZL24rocblas_symm_hemm_kernelILb1ELb0ELi32EPK19rocblas_complex_numIfEPKS3_PKPS1_EvbiiT2_T3_lllSA_lllT4_llli
		.amdhsa_group_segment_fixed_size 16384
		.amdhsa_private_segment_fixed_size 0
		.amdhsa_kernarg_size 384
		.amdhsa_user_sgpr_count 2
		.amdhsa_user_sgpr_dispatch_ptr 0
		.amdhsa_user_sgpr_queue_ptr 0
		.amdhsa_user_sgpr_kernarg_segment_ptr 1
		.amdhsa_user_sgpr_dispatch_id 0
		.amdhsa_user_sgpr_kernarg_preload_length 0
		.amdhsa_user_sgpr_kernarg_preload_offset 0
		.amdhsa_user_sgpr_private_segment_size 0
		.amdhsa_wavefront_size32 1
		.amdhsa_uses_dynamic_stack 0
		.amdhsa_enable_private_segment 0
		.amdhsa_system_sgpr_workgroup_id_x 1
		.amdhsa_system_sgpr_workgroup_id_y 1
		.amdhsa_system_sgpr_workgroup_id_z 1
		.amdhsa_system_sgpr_workgroup_info 0
		.amdhsa_system_vgpr_workitem_id 1
		.amdhsa_next_free_vgpr 57
		.amdhsa_next_free_sgpr 43
		.amdhsa_named_barrier_count 0
		.amdhsa_reserve_vcc 1
		.amdhsa_float_round_mode_32 0
		.amdhsa_float_round_mode_16_64 0
		.amdhsa_float_denorm_mode_32 3
		.amdhsa_float_denorm_mode_16_64 3
		.amdhsa_fp16_overflow 0
		.amdhsa_memory_ordered 1
		.amdhsa_forward_progress 1
		.amdhsa_inst_pref_size 21
		.amdhsa_round_robin_scheduling 0
		.amdhsa_exception_fp_ieee_invalid_op 0
		.amdhsa_exception_fp_denorm_src 0
		.amdhsa_exception_fp_ieee_div_zero 0
		.amdhsa_exception_fp_ieee_overflow 0
		.amdhsa_exception_fp_ieee_underflow 0
		.amdhsa_exception_fp_ieee_inexact 0
		.amdhsa_exception_int_div_zero 0
	.end_amdhsa_kernel
	.section	.text._ZL24rocblas_symm_hemm_kernelILb1ELb0ELi32EPK19rocblas_complex_numIfEPKS3_PKPS1_EvbiiT2_T3_lllSA_lllT4_llli,"axG",@progbits,_ZL24rocblas_symm_hemm_kernelILb1ELb0ELi32EPK19rocblas_complex_numIfEPKS3_PKPS1_EvbiiT2_T3_lllSA_lllT4_llli,comdat
.Lfunc_end56:
	.size	_ZL24rocblas_symm_hemm_kernelILb1ELb0ELi32EPK19rocblas_complex_numIfEPKS3_PKPS1_EvbiiT2_T3_lllSA_lllT4_llli, .Lfunc_end56-_ZL24rocblas_symm_hemm_kernelILb1ELb0ELi32EPK19rocblas_complex_numIfEPKS3_PKPS1_EvbiiT2_T3_lllSA_lllT4_llli
                                        ; -- End function
	.set _ZL24rocblas_symm_hemm_kernelILb1ELb0ELi32EPK19rocblas_complex_numIfEPKS3_PKPS1_EvbiiT2_T3_lllSA_lllT4_llli.num_vgpr, 57
	.set _ZL24rocblas_symm_hemm_kernelILb1ELb0ELi32EPK19rocblas_complex_numIfEPKS3_PKPS1_EvbiiT2_T3_lllSA_lllT4_llli.num_agpr, 0
	.set _ZL24rocblas_symm_hemm_kernelILb1ELb0ELi32EPK19rocblas_complex_numIfEPKS3_PKPS1_EvbiiT2_T3_lllSA_lllT4_llli.numbered_sgpr, 43
	.set _ZL24rocblas_symm_hemm_kernelILb1ELb0ELi32EPK19rocblas_complex_numIfEPKS3_PKPS1_EvbiiT2_T3_lllSA_lllT4_llli.num_named_barrier, 0
	.set _ZL24rocblas_symm_hemm_kernelILb1ELb0ELi32EPK19rocblas_complex_numIfEPKS3_PKPS1_EvbiiT2_T3_lllSA_lllT4_llli.private_seg_size, 0
	.set _ZL24rocblas_symm_hemm_kernelILb1ELb0ELi32EPK19rocblas_complex_numIfEPKS3_PKPS1_EvbiiT2_T3_lllSA_lllT4_llli.uses_vcc, 1
	.set _ZL24rocblas_symm_hemm_kernelILb1ELb0ELi32EPK19rocblas_complex_numIfEPKS3_PKPS1_EvbiiT2_T3_lllSA_lllT4_llli.uses_flat_scratch, 0
	.set _ZL24rocblas_symm_hemm_kernelILb1ELb0ELi32EPK19rocblas_complex_numIfEPKS3_PKPS1_EvbiiT2_T3_lllSA_lllT4_llli.has_dyn_sized_stack, 0
	.set _ZL24rocblas_symm_hemm_kernelILb1ELb0ELi32EPK19rocblas_complex_numIfEPKS3_PKPS1_EvbiiT2_T3_lllSA_lllT4_llli.has_recursion, 0
	.set _ZL24rocblas_symm_hemm_kernelILb1ELb0ELi32EPK19rocblas_complex_numIfEPKS3_PKPS1_EvbiiT2_T3_lllSA_lllT4_llli.has_indirect_call, 0
	.section	.AMDGPU.csdata,"",@progbits
; Kernel info:
; codeLenInByte = 2592
; TotalNumSgprs: 45
; NumVgprs: 57
; ScratchSize: 0
; MemoryBound: 0
; FloatMode: 240
; IeeeMode: 1
; LDSByteSize: 16384 bytes/workgroup (compile time only)
; SGPRBlocks: 0
; VGPRBlocks: 3
; NumSGPRsForWavesPerEU: 45
; NumVGPRsForWavesPerEU: 57
; NamedBarCnt: 0
; Occupancy: 16
; WaveLimiterHint : 1
; COMPUTE_PGM_RSRC2:SCRATCH_EN: 0
; COMPUTE_PGM_RSRC2:USER_SGPR: 2
; COMPUTE_PGM_RSRC2:TRAP_HANDLER: 0
; COMPUTE_PGM_RSRC2:TGID_X_EN: 1
; COMPUTE_PGM_RSRC2:TGID_Y_EN: 1
; COMPUTE_PGM_RSRC2:TGID_Z_EN: 1
; COMPUTE_PGM_RSRC2:TIDIG_COMP_CNT: 1
	.section	.text._ZL24rocblas_symm_hemm_kernelILb1ELb1ELi32EPK19rocblas_complex_numIfEPKS3_PKPS1_EvbiiT2_T3_lllSA_lllT4_llli,"axG",@progbits,_ZL24rocblas_symm_hemm_kernelILb1ELb1ELi32EPK19rocblas_complex_numIfEPKS3_PKPS1_EvbiiT2_T3_lllSA_lllT4_llli,comdat
	.globl	_ZL24rocblas_symm_hemm_kernelILb1ELb1ELi32EPK19rocblas_complex_numIfEPKS3_PKPS1_EvbiiT2_T3_lllSA_lllT4_llli ; -- Begin function _ZL24rocblas_symm_hemm_kernelILb1ELb1ELi32EPK19rocblas_complex_numIfEPKS3_PKPS1_EvbiiT2_T3_lllSA_lllT4_llli
	.p2align	8
	.type	_ZL24rocblas_symm_hemm_kernelILb1ELb1ELi32EPK19rocblas_complex_numIfEPKS3_PKPS1_EvbiiT2_T3_lllSA_lllT4_llli,@function
_ZL24rocblas_symm_hemm_kernelILb1ELb1ELi32EPK19rocblas_complex_numIfEPKS3_PKPS1_EvbiiT2_T3_lllSA_lllT4_llli: ; @_ZL24rocblas_symm_hemm_kernelILb1ELb1ELi32EPK19rocblas_complex_numIfEPKS3_PKPS1_EvbiiT2_T3_lllSA_lllT4_llli
; %bb.0:
	s_load_b256 s[4:11], s[0:1], 0x10
	s_wait_kmcnt 0x0
	s_load_b64 s[24:25], s[4:5], 0x0
	s_wait_kmcnt 0x0
	s_cmp_eq_f32 s24, 0
	s_cselect_b32 s2, -1, 0
	s_cmp_eq_f32 s25, 0
	s_cselect_b32 s3, -1, 0
	s_delay_alu instid0(SALU_CYCLE_1) | instskip(NEXT) | instid1(SALU_CYCLE_1)
	s_and_b32 s2, s2, s3
	s_and_b32 vcc_lo, exec_lo, s2
	s_cbranch_vccnz .LBB57_24
; %bb.1:
	s_load_b32 s3, s[0:1], 0x78
	s_bfe_u32 s2, ttmp6, 0x40014
	s_lshr_b32 s4, ttmp7, 16
	s_add_co_i32 s2, s2, 1
	s_bfe_u32 s12, ttmp6, 0x40008
	s_mul_i32 s5, s4, s2
	s_getreg_b32 s2, hwreg(HW_REG_IB_STS2, 6, 4)
	s_add_co_i32 s12, s12, s5
	s_cmp_eq_u32 s2, 0
	s_cselect_b32 s23, s4, s12
	s_wait_kmcnt 0x0
	s_cmp_ge_u32 s23, s3
	s_cbranch_scc1 .LBB57_24
; %bb.2:
	s_clause 0x4
	s_load_b96 s[20:22], s[0:1], 0x0
	s_load_b128 s[12:15], s[0:1], 0x38
	s_load_b64 s[4:5], s[0:1], 0x68
	s_load_b64 s[26:27], s[0:1], 0x48
	s_load_b128 s[16:19], s[0:1], 0x58
	s_add_nc_u64 s[28:29], s[0:1], 0x80
	v_bfe_u32 v24, v0, 10, 10
	v_and_b32_e32 v25, 0x3ff, v0
	s_mov_b32 s30, s25
	s_mov_b32 s31, s24
	s_delay_alu instid0(VALU_DEP_1) | instskip(NEXT) | instid1(VALU_DEP_1)
	v_dual_lshlrev_b32 v0, 3, v24 :: v_dual_lshlrev_b32 v26, 8, v25
	v_or_b32_e32 v27, 0x2000, v0
	s_delay_alu instid0(VALU_DEP_1)
	v_dual_add_nc_u32 v28, v26, v0 :: v_dual_add_nc_u32 v29, v27, v26
	s_wait_kmcnt 0x0
	s_bitcmp1_b32 s20, 0
	v_add_nc_u32_e32 v31, 0x800, v27
	s_cselect_b32 s0, -1, 0
	s_add_co_i32 s1, s22, -1
	s_bfe_u32 s33, ttmp6, 0x4000c
	s_bfe_u32 s35, ttmp6, 0x40010
	s_ashr_i32 s37, s1, 31
	s_and_b32 s34, ttmp7, 0xffff
	s_add_co_i32 s33, s33, 1
	s_add_co_i32 s35, s35, 1
	s_lshr_b32 s37, s37, 27
	s_and_b32 s20, ttmp6, 15
	s_bfe_u32 s36, ttmp6, 0x40004
	s_mul_i32 s33, ttmp9, s33
	s_mul_i32 s35, s34, s35
	s_add_co_i32 s1, s1, s37
	s_add_co_i32 s33, s20, s33
	;; [unrolled: 1-line block ×3, first 2 shown]
	s_ashr_i32 s20, s1, 5
	s_cmp_eq_u32 s2, 0
	v_add_nc_u32_e32 v32, 0x1000, v27
	s_cselect_b32 s1, ttmp9, s33
	s_cselect_b32 s33, s34, s36
	v_lshl_add_u32 v0, s1, 5, v25
	v_lshl_add_u32 v2, s33, 5, v24
	s_cmp_le_i32 s33, s20
	v_add_nc_u32_e32 v33, 0x1800, v27
	s_cselect_b32 s34, -1, 0
	s_delay_alu instid0(VALU_DEP_2)
	v_dual_ashrrev_i32 v1, 31, v0 :: v_dual_sub_nc_u32 v30, 0, v2
	v_cmp_gt_i32_e64 s1, s21, v0
	s_cmp_gt_i32 s22, 0
	v_lshlrev_b64_e32 v[0:1], 3, v[0:1]
	s_cselect_b32 s21, -1, 0
	s_lshl_b64 s[8:9], s[8:9], 3
	s_lshl_b64 s[18:19], s[18:19], 3
	;; [unrolled: 1-line block ×3, first 2 shown]
	s_branch .LBB57_4
.LBB57_3:                               ;   in Loop: Header=BB57_4 Depth=1
	s_add_co_i32 s23, s23, 0x10000
	s_delay_alu instid0(SALU_CYCLE_1)
	s_cmp_lt_u32 s23, s3
	s_cbranch_scc0 .LBB57_24
.LBB57_4:                               ; =>This Loop Header: Depth=1
                                        ;     Child Loop BB57_7 Depth 2
                                        ;       Child Loop BB57_10 Depth 3
	s_and_not1_b32 vcc_lo, exec_lo, s34
	s_cbranch_vccnz .LBB57_3
; %bb.5:                                ;   in Loop: Header=BB57_4 Depth=1
	v_dual_mov_b32 v8, s23 :: v_dual_mov_b32 v34, v30
	s_mov_b32 s37, s33
	s_clause 0x2
	global_load_b64 v[2:3], v8, s[12:13] scale_offset
	global_load_b64 v[4:5], v8, s[16:17] scale_offset
	;; [unrolled: 1-line block ×3, first 2 shown]
	s_load_b32 s35, s[28:29], 0x4
	s_wait_kmcnt 0x0
	s_lshl_b32 s36, s35, 5
	s_wait_loadcnt 0x2
	v_add_nc_u64_e32 v[8:9], s[14:15], v[2:3]
	s_wait_loadcnt 0x1
	v_add_nc_u64_e32 v[10:11], s[18:19], v[4:5]
	s_wait_loadcnt 0x0
	v_add_nc_u64_e32 v[2:3], s[8:9], v[6:7]
	s_delay_alu instid0(VALU_DEP_3) | instskip(NEXT) | instid1(VALU_DEP_3)
	v_add_nc_u64_e32 v[4:5], v[8:9], v[0:1]
	v_add_nc_u64_e32 v[6:7], v[10:11], v[0:1]
	s_branch .LBB57_7
.LBB57_6:                               ;   in Loop: Header=BB57_7 Depth=2
	v_subrev_nc_u32_e32 v34, s36, v34
	s_add_co_i32 s37, s37, s35
	s_delay_alu instid0(SALU_CYCLE_1)
	s_cmp_gt_i32 s37, s20
	s_cbranch_scc1 .LBB57_3
.LBB57_7:                               ;   Parent Loop BB57_4 Depth=1
                                        ; =>  This Loop Header: Depth=2
                                        ;       Child Loop BB57_10 Depth 3
	s_and_not1_b32 vcc_lo, exec_lo, s21
	s_cbranch_vccnz .LBB57_6
; %bb.8:                                ;   in Loop: Header=BB57_7 Depth=2
	v_lshl_add_u32 v8, s37, 5, v24
	s_mov_b32 s39, 0
	s_delay_alu instid0(VALU_DEP_1) | instskip(SKIP_1) | instid1(VALU_DEP_2)
	v_ashrrev_i32_e32 v9, 31, v8
	v_cmp_gt_i32_e32 vcc_lo, s22, v8
	v_mul_u64_e32 v[10:11], s[10:11], v[8:9]
	v_mul_u64_e32 v[16:17], s[4:5], v[8:9]
	v_lshlrev_b64_e32 v[14:15], 3, v[8:9]
	v_add_nc_u32_e32 v9, v25, v34
	s_and_b32 s38, s1, vcc_lo
	s_delay_alu instid0(VALU_DEP_2) | instskip(SKIP_2) | instid1(VALU_DEP_2)
	v_add_nc_u64_e32 v[12:13], v[2:3], v[14:15]
	v_lshl_add_u64 v[10:11], v[10:11], 3, v[2:3]
	v_lshl_add_u64 v[16:17], v[16:17], 3, v[6:7]
	v_add_nc_u64_e32 v[14:15], v[10:11], v[14:15]
	s_branch .LBB57_10
.LBB57_9:                               ;   in Loop: Header=BB57_10 Depth=3
	s_wait_xcnt 0x0
	s_or_b32 exec_lo, exec_lo, s2
	s_add_co_i32 s39, s39, 32
	s_wait_storecnt_dscnt 0x0
	s_cmp_ge_i32 s39, s22
	s_barrier_signal -1
	s_barrier_wait -1
	s_cbranch_scc1 .LBB57_6
.LBB57_10:                              ;   Parent Loop BB57_4 Depth=1
                                        ;     Parent Loop BB57_7 Depth=2
                                        ; =>    This Inner Loop Header: Depth=3
	v_dual_add_nc_u32 v20, s39, v24 :: v_dual_mov_b32 v18, 0
	v_dual_mov_b32 v22, 0 :: v_dual_mov_b32 v23, 0
	s_delay_alu instid0(VALU_DEP_2) | instskip(SKIP_1) | instid1(SALU_CYCLE_1)
	v_cmp_gt_i32_e32 vcc_lo, s22, v20
	s_and_b32 s40, s1, vcc_lo
	s_and_saveexec_b32 s2, s40
	s_cbranch_execz .LBB57_12
; %bb.11:                               ;   in Loop: Header=BB57_10 Depth=3
	v_ashrrev_i32_e32 v21, 31, v20
	s_delay_alu instid0(VALU_DEP_1) | instskip(NEXT) | instid1(VALU_DEP_1)
	v_mul_u64_e32 v[20:21], s[26:27], v[20:21]
	v_lshl_add_u64 v[20:21], v[20:21], 3, v[4:5]
	flat_load_b64 v[22:23], v[20:21]
.LBB57_12:                              ;   in Loop: Header=BB57_10 Depth=3
	s_wait_xcnt 0x0
	s_or_b32 exec_lo, exec_lo, s2
	v_add_nc_u32_e32 v20, s39, v25
	s_mov_b32 s40, exec_lo
	s_wait_loadcnt_dscnt 0x0
	ds_store_b64 v28, v[22:23]
	v_cndmask_b32_e64 v19, v8, v20, s0
	v_cndmask_b32_e64 v21, v20, v8, s0
	s_delay_alu instid0(VALU_DEP_1) | instskip(SKIP_3) | instid1(VALU_DEP_2)
	v_cmp_gt_i32_e32 vcc_lo, v19, v21
	v_cndmask_b32_e32 v35, v20, v8, vcc_lo
	v_cndmask_b32_e32 v36, v8, v20, vcc_lo
	v_cmp_le_i32_e32 vcc_lo, v19, v21
	v_dual_mov_b32 v19, 0 :: v_dual_max_i32 v35, v35, v36
	s_delay_alu instid0(VALU_DEP_1)
	v_cmpx_gt_i32_e64 s22, v35
	s_cbranch_execz .LBB57_22
; %bb.13:                               ;   in Loop: Header=BB57_10 Depth=3
                                        ; implicit-def: $vgpr19
	s_and_saveexec_b32 s2, vcc_lo
	s_delay_alu instid0(SALU_CYCLE_1)
	s_xor_b32 s2, exec_lo, s2
	s_cbranch_execz .LBB57_19
; %bb.14:                               ;   in Loop: Header=BB57_10 Depth=3
	v_add_nc_u32_e32 v18, s39, v9
	s_delay_alu instid0(VALU_DEP_1) | instskip(SKIP_1) | instid1(SALU_CYCLE_1)
	v_cmp_ne_u32_e32 vcc_lo, 0, v18
                                        ; implicit-def: $vgpr19
	s_and_saveexec_b32 s41, vcc_lo
	s_xor_b32 s41, exec_lo, s41
	s_cbranch_execz .LBB57_16
; %bb.15:                               ;   in Loop: Header=BB57_10 Depth=3
	v_ashrrev_i32_e32 v21, 31, v20
	s_delay_alu instid0(VALU_DEP_1)
	v_lshl_add_u64 v[18:19], v[20:21], 3, v[10:11]
	flat_load_b64 v[18:19], v[18:19]
.LBB57_16:                              ;   in Loop: Header=BB57_10 Depth=3
	s_wait_xcnt 0x0
	s_and_not1_saveexec_b32 s41, s41
	s_cbranch_execz .LBB57_18
; %bb.17:                               ;   in Loop: Header=BB57_10 Depth=3
	s_wait_loadcnt_dscnt 0x0
	flat_load_b32 v18, v[14:15]
	v_mov_b32_e32 v19, 0
.LBB57_18:                              ;   in Loop: Header=BB57_10 Depth=3
	s_wait_xcnt 0x0
	s_or_b32 exec_lo, exec_lo, s41
                                        ; implicit-def: $vgpr20
.LBB57_19:                              ;   in Loop: Header=BB57_10 Depth=3
	s_and_not1_saveexec_b32 s2, s2
	s_cbranch_execz .LBB57_21
; %bb.20:                               ;   in Loop: Header=BB57_10 Depth=3
	v_ashrrev_i32_e32 v21, 31, v20
	s_wait_loadcnt_dscnt 0x0
	s_delay_alu instid0(VALU_DEP_1) | instskip(NEXT) | instid1(VALU_DEP_1)
	v_mul_u64_e32 v[18:19], s[10:11], v[20:21]
	v_lshl_add_u64 v[18:19], v[18:19], 3, v[12:13]
	flat_load_b64 v[18:19], v[18:19]
	s_wait_loadcnt_dscnt 0x0
	v_xor_b32_e32 v19, 0x80000000, v19
.LBB57_21:                              ;   in Loop: Header=BB57_10 Depth=3
	s_or_b32 exec_lo, exec_lo, s2
.LBB57_22:                              ;   in Loop: Header=BB57_10 Depth=3
	s_delay_alu instid0(SALU_CYCLE_1)
	s_or_b32 exec_lo, exec_lo, s40
	s_wait_loadcnt_dscnt 0x0
	ds_store_b64 v29, v[18:19]
	s_wait_dscnt 0x0
	s_barrier_signal -1
	s_barrier_wait -1
	s_and_saveexec_b32 s2, s38
	s_cbranch_execz .LBB57_9
; %bb.23:                               ;   in Loop: Header=BB57_10 Depth=3
	flat_load_b64 v[18:19], v[16:17]
	ds_load_2addr_b64 v[20:23], v27 offset1:32
	ds_load_b128 v[36:39], v26
	ds_load_b128 v[40:43], v26 offset:16
	ds_load_2addr_b64 v[44:47], v27 offset0:64 offset1:96
	ds_load_b128 v[48:51], v26 offset:32
	ds_load_2addr_b64 v[52:55], v27 offset0:128 offset1:160
	s_wait_dscnt 0x4
	v_dual_mul_f32 v35, v21, v37 :: v_dual_mul_f32 v37, v20, v37
	s_wait_dscnt 0x2
	v_dual_mul_f32 v56, v45, v41 :: v_dual_mul_f32 v41, v44, v41
	s_delay_alu instid0(VALU_DEP_2) | instskip(SKIP_1) | instid1(VALU_DEP_3)
	v_dual_fma_f32 v20, v20, v36, -v35 :: v_dual_fmac_f32 v37, v21, v36
	v_dual_mul_f32 v21, v23, v39 :: v_dual_mul_f32 v35, v22, v39
	v_fmac_f32_e32 v41, v45, v40
	s_delay_alu instid0(VALU_DEP_3) | instskip(NEXT) | instid1(VALU_DEP_3)
	v_dual_add_f32 v36, 0, v20 :: v_dual_add_f32 v37, 0, v37
	v_dual_fma_f32 v39, v22, v38, -v21 :: v_dual_fmac_f32 v35, v23, v38
	v_fma_f32 v38, v44, v40, -v56
	ds_load_b128 v[20:23], v26 offset:48
	v_dual_mul_f32 v40, v47, v43 :: v_dual_mul_f32 v43, v46, v43
	v_add_f32_e32 v36, v36, v39
	s_delay_alu instid0(VALU_DEP_2) | instskip(NEXT) | instid1(VALU_DEP_3)
	v_dual_add_f32 v35, v37, v35 :: v_dual_fma_f32 v40, v46, v42, -v40
	v_fmac_f32_e32 v43, v47, v42
	s_delay_alu instid0(VALU_DEP_2) | instskip(SKIP_4) | instid1(VALU_DEP_2)
	v_dual_add_f32 v44, v36, v38 :: v_dual_add_f32 v35, v35, v41
	ds_load_2addr_b64 v[36:39], v27 offset0:192 offset1:224
	s_wait_dscnt 0x2
	v_dual_mul_f32 v41, v53, v49 :: v_dual_mul_f32 v49, v52, v49
	v_dual_add_f32 v56, v44, v40 :: v_dual_add_f32 v35, v35, v43
	v_fma_f32 v52, v52, v48, -v41
	ds_load_b128 v[40:43], v26 offset:64
	ds_load_2addr_b64 v[44:47], v31 offset1:32
	v_dual_fmac_f32 v49, v53, v48 :: v_dual_mul_f32 v48, v55, v51
	v_dual_mul_f32 v51, v54, v51 :: v_dual_add_f32 v52, v56, v52
	s_delay_alu instid0(VALU_DEP_2) | instskip(NEXT) | instid1(VALU_DEP_1)
	v_dual_add_f32 v35, v35, v49 :: v_dual_fma_f32 v48, v54, v50, -v48
	v_dual_fmac_f32 v51, v55, v50 :: v_dual_add_f32 v56, v52, v48
	s_wait_dscnt 0x2
	s_delay_alu instid0(VALU_DEP_1) | instskip(NEXT) | instid1(VALU_DEP_1)
	v_dual_add_f32 v35, v35, v51 :: v_dual_mul_f32 v49, v37, v21
	v_dual_mul_f32 v21, v36, v21 :: v_dual_fma_f32 v36, v36, v20, -v49
	s_delay_alu instid0(VALU_DEP_1)
	v_dual_fmac_f32 v21, v37, v20 :: v_dual_mul_f32 v20, v39, v23
	ds_load_b128 v[48:51], v26 offset:80
	ds_load_2addr_b64 v[52:55], v31 offset0:64 offset1:96
	v_dual_mul_f32 v23, v38, v23 :: v_dual_add_f32 v36, v56, v36
	s_wait_dscnt 0x2
	v_dual_mul_f32 v37, v45, v41 :: v_dual_fma_f32 v20, v38, v22, -v20
	v_add_f32_e32 v21, v35, v21
	s_delay_alu instid0(VALU_DEP_3) | instskip(NEXT) | instid1(VALU_DEP_3)
	v_dual_fmac_f32 v23, v39, v22 :: v_dual_mul_f32 v35, v44, v41
	v_fma_f32 v22, v44, v40, -v37
	s_delay_alu instid0(VALU_DEP_2) | instskip(NEXT) | instid1(VALU_DEP_3)
	v_dual_add_f32 v20, v36, v20 :: v_dual_add_f32 v41, v21, v23
	v_dual_fmac_f32 v35, v45, v40 :: v_dual_mul_f32 v40, v47, v43
	s_delay_alu instid0(VALU_DEP_2)
	v_add_f32_e32 v44, v20, v22
	ds_load_b128 v[20:23], v26 offset:96
	ds_load_2addr_b64 v[36:39], v31 offset0:128 offset1:160
	v_dual_mul_f32 v43, v46, v43 :: v_dual_fma_f32 v40, v46, v42, -v40
	v_add_f32_e32 v35, v41, v35
	s_wait_dscnt 0x2
	s_delay_alu instid0(VALU_DEP_2) | instskip(SKIP_2) | instid1(VALU_DEP_3)
	v_dual_mul_f32 v45, v53, v49 :: v_dual_fmac_f32 v43, v47, v42
	v_mul_f32_e32 v49, v52, v49
	v_add_f32_e32 v40, v44, v40
	v_dual_fma_f32 v41, v52, v48, -v45 :: v_dual_mul_f32 v42, v55, v51
	s_delay_alu instid0(VALU_DEP_3) | instskip(NEXT) | instid1(VALU_DEP_2)
	v_dual_fmac_f32 v49, v53, v48 :: v_dual_add_f32 v35, v35, v43
	v_dual_mul_f32 v51, v54, v51 :: v_dual_add_f32 v48, v40, v41
	s_delay_alu instid0(VALU_DEP_3)
	v_fma_f32 v52, v54, v50, -v42
	ds_load_b128 v[40:43], v26 offset:112
	ds_load_2addr_b64 v[44:47], v31 offset0:192 offset1:224
	v_add_f32_e32 v35, v35, v49
	s_wait_dscnt 0x2
	v_dual_fmac_f32 v51, v55, v50 :: v_dual_mul_f32 v53, v37, v21
	v_add_f32_e32 v48, v48, v52
	s_delay_alu instid0(VALU_DEP_2) | instskip(NEXT) | instid1(VALU_DEP_1)
	v_dual_mul_f32 v21, v36, v21 :: v_dual_fma_f32 v36, v36, v20, -v53
	v_dual_add_f32 v35, v35, v51 :: v_dual_fmac_f32 v21, v37, v20
	s_delay_alu instid0(VALU_DEP_2) | instskip(SKIP_3) | instid1(VALU_DEP_1)
	v_dual_add_f32 v20, v48, v36 :: v_dual_mul_f32 v36, v39, v23
	ds_load_b128 v[48:51], v26 offset:128
	ds_load_2addr_b64 v[52:55], v32 offset1:32
	v_dual_mul_f32 v23, v38, v23 :: v_dual_add_f32 v21, v35, v21
	v_dual_fma_f32 v35, v38, v22, -v36 :: v_dual_fmac_f32 v23, v39, v22
	s_wait_dscnt 0x2
	v_dual_mul_f32 v22, v45, v41 :: v_dual_mul_f32 v41, v44, v41
	s_delay_alu instid0(VALU_DEP_2) | instskip(NEXT) | instid1(VALU_DEP_2)
	v_add_f32_e32 v35, v20, v35
	v_dual_add_f32 v56, v21, v23 :: v_dual_fma_f32 v44, v44, v40, -v22
	s_delay_alu instid0(VALU_DEP_3)
	v_dual_fmac_f32 v41, v45, v40 :: v_dual_mul_f32 v40, v47, v43
	v_mul_f32_e32 v43, v46, v43
	ds_load_b128 v[20:23], v26 offset:144
	ds_load_2addr_b64 v[36:39], v32 offset0:64 offset1:96
	v_dual_add_f32 v35, v35, v44 :: v_dual_add_f32 v41, v56, v41
	v_dual_fma_f32 v40, v46, v42, -v40 :: v_dual_fmac_f32 v43, v47, v42
	s_wait_dscnt 0x2
	v_dual_mul_f32 v42, v53, v49 :: v_dual_mul_f32 v49, v52, v49
	s_delay_alu instid0(VALU_DEP_2) | instskip(NEXT) | instid1(VALU_DEP_2)
	v_dual_add_f32 v35, v35, v40 :: v_dual_add_f32 v56, v41, v43
	v_dual_fma_f32 v52, v52, v48, -v42 :: v_dual_fmac_f32 v49, v53, v48
	ds_load_b128 v[40:43], v26 offset:160
	ds_load_2addr_b64 v[44:47], v32 offset0:128 offset1:160
	v_dual_mul_f32 v48, v55, v51 :: v_dual_mul_f32 v51, v54, v51
	s_delay_alu instid0(VALU_DEP_1) | instskip(SKIP_2) | instid1(VALU_DEP_3)
	v_dual_add_f32 v35, v35, v52 :: v_dual_fma_f32 v48, v54, v50, -v48
	v_add_f32_e32 v49, v56, v49
	s_wait_dscnt 0x2
	v_dual_mul_f32 v52, v37, v21 :: v_dual_fmac_f32 v51, v55, v50
	s_delay_alu instid0(VALU_DEP_3) | instskip(NEXT) | instid1(VALU_DEP_2)
	v_dual_mul_f32 v21, v36, v21 :: v_dual_add_f32 v35, v35, v48
	v_dual_fma_f32 v36, v36, v20, -v52 :: v_dual_add_f32 v56, v49, v51
	s_delay_alu instid0(VALU_DEP_2)
	v_dual_fmac_f32 v21, v37, v20 :: v_dual_mul_f32 v20, v39, v23
	ds_load_b128 v[48:51], v26 offset:176
	ds_load_2addr_b64 v[52:55], v32 offset0:192 offset1:224
	v_dual_add_f32 v35, v35, v36 :: v_dual_mul_f32 v23, v38, v23
	s_wait_dscnt 0x2
	v_dual_fma_f32 v20, v38, v22, -v20 :: v_dual_mul_f32 v36, v45, v41
	s_delay_alu instid0(VALU_DEP_2) | instskip(NEXT) | instid1(VALU_DEP_2)
	v_dual_add_f32 v21, v56, v21 :: v_dual_fmac_f32 v23, v39, v22
	v_dual_add_f32 v20, v35, v20 :: v_dual_mul_f32 v35, v44, v41
	s_delay_alu instid0(VALU_DEP_3) | instskip(NEXT) | instid1(VALU_DEP_3)
	v_dual_fma_f32 v22, v44, v40, -v36 :: v_dual_mul_f32 v36, v47, v43
	v_add_f32_e32 v41, v21, v23
	s_delay_alu instid0(VALU_DEP_3) | instskip(NEXT) | instid1(VALU_DEP_3)
	v_dual_mul_f32 v43, v46, v43 :: v_dual_fmac_f32 v35, v45, v40
	v_add_f32_e32 v40, v20, v22
	s_delay_alu instid0(VALU_DEP_4)
	v_fma_f32 v44, v46, v42, -v36
	ds_load_b128 v[20:23], v26 offset:192
	ds_load_2addr_b64 v[36:39], v33 offset1:32
	s_wait_dscnt 0x2
	v_dual_fmac_f32 v43, v47, v42 :: v_dual_mul_f32 v45, v53, v49
	v_dual_add_f32 v35, v41, v35 :: v_dual_add_f32 v40, v40, v44
	s_delay_alu instid0(VALU_DEP_2) | instskip(NEXT) | instid1(VALU_DEP_2)
	v_dual_mul_f32 v49, v52, v49 :: v_dual_fma_f32 v41, v52, v48, -v45
	v_add_f32_e32 v35, v35, v43
	s_delay_alu instid0(VALU_DEP_2) | instskip(NEXT) | instid1(VALU_DEP_3)
	v_dual_mul_f32 v52, v55, v51 :: v_dual_fmac_f32 v49, v53, v48
	v_dual_mul_f32 v51, v54, v51 :: v_dual_add_f32 v48, v40, v41
	ds_load_b128 v[40:43], v26 offset:208
	ds_load_2addr_b64 v[44:47], v33 offset0:64 offset1:96
	v_dual_add_f32 v35, v35, v49 :: v_dual_fma_f32 v49, v54, v50, -v52
	s_wait_dscnt 0x2
	v_dual_fmac_f32 v51, v55, v50 :: v_dual_mul_f32 v50, v37, v21
	v_mul_f32_e32 v21, v36, v21
	s_delay_alu instid0(VALU_DEP_2) | instskip(NEXT) | instid1(VALU_DEP_2)
	v_dual_add_f32 v56, v48, v49 :: v_dual_add_f32 v35, v35, v51
	v_dual_fma_f32 v36, v36, v20, -v50 :: v_dual_fmac_f32 v21, v37, v20
	v_dual_mul_f32 v20, v39, v23 :: v_dual_mul_f32 v23, v38, v23
	ds_load_b128 v[48:51], v26 offset:224
	ds_load_2addr_b64 v[52:55], v33 offset0:128 offset1:160
	v_dual_add_f32 v36, v56, v36 :: v_dual_add_f32 v21, v35, v21
	v_dual_fma_f32 v20, v38, v22, -v20 :: v_dual_fmac_f32 v23, v39, v22
	s_wait_dscnt 0x2
	v_dual_mul_f32 v35, v44, v41 :: v_dual_mul_f32 v41, v45, v41
	s_delay_alu instid0(VALU_DEP_2) | instskip(SKIP_4) | instid1(VALU_DEP_2)
	v_dual_add_f32 v56, v36, v20 :: v_dual_add_f32 v57, v21, v23
	ds_load_b128 v[20:23], v26 offset:240
	ds_load_2addr_b64 v[36:39], v33 offset0:192 offset1:224
	v_dual_fmac_f32 v35, v45, v40 :: v_dual_mul_f32 v45, v46, v43
	v_dual_fma_f32 v40, v44, v40, -v41 :: v_dual_mul_f32 v41, v47, v43
	v_dual_add_f32 v35, v57, v35 :: v_dual_fmac_f32 v45, v47, v42
	s_delay_alu instid0(VALU_DEP_2) | instskip(SKIP_2) | instid1(VALU_DEP_3)
	v_dual_add_f32 v40, v56, v40 :: v_dual_fma_f32 v41, v46, v42, -v41
	s_wait_dscnt 0x2
	v_dual_mul_f32 v43, v52, v49 :: v_dual_mul_f32 v42, v53, v49
	v_dual_add_f32 v35, v35, v45 :: v_dual_mul_f32 v44, v54, v51
	s_delay_alu instid0(VALU_DEP_2) | instskip(NEXT) | instid1(VALU_DEP_3)
	v_dual_add_f32 v40, v40, v41 :: v_dual_fmac_f32 v43, v53, v48
	v_dual_fma_f32 v41, v52, v48, -v42 :: v_dual_mul_f32 v42, v55, v51
	s_delay_alu instid0(VALU_DEP_3) | instskip(SKIP_1) | instid1(VALU_DEP_3)
	v_fmac_f32_e32 v44, v55, v50
	s_wait_dscnt 0x0
	v_dual_add_f32 v35, v35, v43 :: v_dual_mul_f32 v43, v36, v21
	s_delay_alu instid0(VALU_DEP_3) | instskip(NEXT) | instid1(VALU_DEP_2)
	v_dual_add_f32 v40, v40, v41 :: v_dual_fma_f32 v41, v54, v50, -v42
	v_dual_mul_f32 v21, v37, v21 :: v_dual_add_f32 v35, v35, v44
	s_delay_alu instid0(VALU_DEP_3) | instskip(NEXT) | instid1(VALU_DEP_3)
	v_dual_fmac_f32 v43, v37, v20 :: v_dual_mul_f32 v37, v38, v23
	v_add_f32_e32 v40, v40, v41
	s_delay_alu instid0(VALU_DEP_3) | instskip(NEXT) | instid1(VALU_DEP_3)
	v_dual_fma_f32 v20, v36, v20, -v21 :: v_dual_mul_f32 v23, v39, v23
	v_add_f32_e32 v21, v35, v43
	s_delay_alu instid0(VALU_DEP_2) | instskip(NEXT) | instid1(VALU_DEP_3)
	v_dual_fmac_f32 v37, v39, v22 :: v_dual_add_f32 v35, v40, v20
	v_fma_f32 v36, v38, v22, -v23
	v_mov_b64_e32 v[22:23], s[30:31]
	s_delay_alu instid0(VALU_DEP_2) | instskip(NEXT) | instid1(VALU_DEP_1)
	v_dual_add_f32 v20, v21, v37 :: v_dual_add_f32 v36, v35, v36
	v_pk_mul_f32 v[20:21], v[22:23], v[20:21] op_sel_hi:[1,0]
	v_mov_b64_e32 v[22:23], s[24:25]
	s_delay_alu instid0(VALU_DEP_1) | instskip(SKIP_1) | instid1(VALU_DEP_2)
	v_pk_fma_f32 v[38:39], v[22:23], v[36:37], v[20:21] op_sel_hi:[1,0,1]
	v_pk_fma_f32 v[20:21], v[22:23], v[36:37], v[20:21] neg_lo:[0,0,1] neg_hi:[0,0,1]
	v_mov_b32_e32 v21, v39
	s_wait_loadcnt 0x0
	s_delay_alu instid0(VALU_DEP_1)
	v_pk_add_f32 v[18:19], v[18:19], v[20:21]
	flat_store_b64 v[16:17], v[18:19]
	s_branch .LBB57_9
.LBB57_24:
	s_endpgm
	.section	.rodata,"a",@progbits
	.p2align	6, 0x0
	.amdhsa_kernel _ZL24rocblas_symm_hemm_kernelILb1ELb1ELi32EPK19rocblas_complex_numIfEPKS3_PKPS1_EvbiiT2_T3_lllSA_lllT4_llli
		.amdhsa_group_segment_fixed_size 16384
		.amdhsa_private_segment_fixed_size 0
		.amdhsa_kernarg_size 384
		.amdhsa_user_sgpr_count 2
		.amdhsa_user_sgpr_dispatch_ptr 0
		.amdhsa_user_sgpr_queue_ptr 0
		.amdhsa_user_sgpr_kernarg_segment_ptr 1
		.amdhsa_user_sgpr_dispatch_id 0
		.amdhsa_user_sgpr_kernarg_preload_length 0
		.amdhsa_user_sgpr_kernarg_preload_offset 0
		.amdhsa_user_sgpr_private_segment_size 0
		.amdhsa_wavefront_size32 1
		.amdhsa_uses_dynamic_stack 0
		.amdhsa_enable_private_segment 0
		.amdhsa_system_sgpr_workgroup_id_x 1
		.amdhsa_system_sgpr_workgroup_id_y 1
		.amdhsa_system_sgpr_workgroup_id_z 1
		.amdhsa_system_sgpr_workgroup_info 0
		.amdhsa_system_vgpr_workitem_id 1
		.amdhsa_next_free_vgpr 58
		.amdhsa_next_free_sgpr 42
		.amdhsa_named_barrier_count 0
		.amdhsa_reserve_vcc 1
		.amdhsa_float_round_mode_32 0
		.amdhsa_float_round_mode_16_64 0
		.amdhsa_float_denorm_mode_32 3
		.amdhsa_float_denorm_mode_16_64 3
		.amdhsa_fp16_overflow 0
		.amdhsa_memory_ordered 1
		.amdhsa_forward_progress 1
		.amdhsa_inst_pref_size 21
		.amdhsa_round_robin_scheduling 0
		.amdhsa_exception_fp_ieee_invalid_op 0
		.amdhsa_exception_fp_denorm_src 0
		.amdhsa_exception_fp_ieee_div_zero 0
		.amdhsa_exception_fp_ieee_overflow 0
		.amdhsa_exception_fp_ieee_underflow 0
		.amdhsa_exception_fp_ieee_inexact 0
		.amdhsa_exception_int_div_zero 0
	.end_amdhsa_kernel
	.section	.text._ZL24rocblas_symm_hemm_kernelILb1ELb1ELi32EPK19rocblas_complex_numIfEPKS3_PKPS1_EvbiiT2_T3_lllSA_lllT4_llli,"axG",@progbits,_ZL24rocblas_symm_hemm_kernelILb1ELb1ELi32EPK19rocblas_complex_numIfEPKS3_PKPS1_EvbiiT2_T3_lllSA_lllT4_llli,comdat
.Lfunc_end57:
	.size	_ZL24rocblas_symm_hemm_kernelILb1ELb1ELi32EPK19rocblas_complex_numIfEPKS3_PKPS1_EvbiiT2_T3_lllSA_lllT4_llli, .Lfunc_end57-_ZL24rocblas_symm_hemm_kernelILb1ELb1ELi32EPK19rocblas_complex_numIfEPKS3_PKPS1_EvbiiT2_T3_lllSA_lllT4_llli
                                        ; -- End function
	.set _ZL24rocblas_symm_hemm_kernelILb1ELb1ELi32EPK19rocblas_complex_numIfEPKS3_PKPS1_EvbiiT2_T3_lllSA_lllT4_llli.num_vgpr, 58
	.set _ZL24rocblas_symm_hemm_kernelILb1ELb1ELi32EPK19rocblas_complex_numIfEPKS3_PKPS1_EvbiiT2_T3_lllSA_lllT4_llli.num_agpr, 0
	.set _ZL24rocblas_symm_hemm_kernelILb1ELb1ELi32EPK19rocblas_complex_numIfEPKS3_PKPS1_EvbiiT2_T3_lllSA_lllT4_llli.numbered_sgpr, 42
	.set _ZL24rocblas_symm_hemm_kernelILb1ELb1ELi32EPK19rocblas_complex_numIfEPKS3_PKPS1_EvbiiT2_T3_lllSA_lllT4_llli.num_named_barrier, 0
	.set _ZL24rocblas_symm_hemm_kernelILb1ELb1ELi32EPK19rocblas_complex_numIfEPKS3_PKPS1_EvbiiT2_T3_lllSA_lllT4_llli.private_seg_size, 0
	.set _ZL24rocblas_symm_hemm_kernelILb1ELb1ELi32EPK19rocblas_complex_numIfEPKS3_PKPS1_EvbiiT2_T3_lllSA_lllT4_llli.uses_vcc, 1
	.set _ZL24rocblas_symm_hemm_kernelILb1ELb1ELi32EPK19rocblas_complex_numIfEPKS3_PKPS1_EvbiiT2_T3_lllSA_lllT4_llli.uses_flat_scratch, 0
	.set _ZL24rocblas_symm_hemm_kernelILb1ELb1ELi32EPK19rocblas_complex_numIfEPKS3_PKPS1_EvbiiT2_T3_lllSA_lllT4_llli.has_dyn_sized_stack, 0
	.set _ZL24rocblas_symm_hemm_kernelILb1ELb1ELi32EPK19rocblas_complex_numIfEPKS3_PKPS1_EvbiiT2_T3_lllSA_lllT4_llli.has_recursion, 0
	.set _ZL24rocblas_symm_hemm_kernelILb1ELb1ELi32EPK19rocblas_complex_numIfEPKS3_PKPS1_EvbiiT2_T3_lllSA_lllT4_llli.has_indirect_call, 0
	.section	.AMDGPU.csdata,"",@progbits
; Kernel info:
; codeLenInByte = 2640
; TotalNumSgprs: 44
; NumVgprs: 58
; ScratchSize: 0
; MemoryBound: 0
; FloatMode: 240
; IeeeMode: 1
; LDSByteSize: 16384 bytes/workgroup (compile time only)
; SGPRBlocks: 0
; VGPRBlocks: 3
; NumSGPRsForWavesPerEU: 44
; NumVGPRsForWavesPerEU: 58
; NamedBarCnt: 0
; Occupancy: 16
; WaveLimiterHint : 1
; COMPUTE_PGM_RSRC2:SCRATCH_EN: 0
; COMPUTE_PGM_RSRC2:USER_SGPR: 2
; COMPUTE_PGM_RSRC2:TRAP_HANDLER: 0
; COMPUTE_PGM_RSRC2:TGID_X_EN: 1
; COMPUTE_PGM_RSRC2:TGID_Y_EN: 1
; COMPUTE_PGM_RSRC2:TGID_Z_EN: 1
; COMPUTE_PGM_RSRC2:TIDIG_COMP_CNT: 1
	.section	.text._ZL24rocblas_symm_hemm_kernelILb1ELb0ELi32E19rocblas_complex_numIfEPKPKS1_PKPS1_EvbiiT2_T3_lllSA_lllT4_llli,"axG",@progbits,_ZL24rocblas_symm_hemm_kernelILb1ELb0ELi32E19rocblas_complex_numIfEPKPKS1_PKPS1_EvbiiT2_T3_lllSA_lllT4_llli,comdat
	.globl	_ZL24rocblas_symm_hemm_kernelILb1ELb0ELi32E19rocblas_complex_numIfEPKPKS1_PKPS1_EvbiiT2_T3_lllSA_lllT4_llli ; -- Begin function _ZL24rocblas_symm_hemm_kernelILb1ELb0ELi32E19rocblas_complex_numIfEPKPKS1_PKPS1_EvbiiT2_T3_lllSA_lllT4_llli
	.p2align	8
	.type	_ZL24rocblas_symm_hemm_kernelILb1ELb0ELi32E19rocblas_complex_numIfEPKPKS1_PKPS1_EvbiiT2_T3_lllSA_lllT4_llli,@function
_ZL24rocblas_symm_hemm_kernelILb1ELb0ELi32E19rocblas_complex_numIfEPKPKS1_PKPS1_EvbiiT2_T3_lllSA_lllT4_llli: ; @_ZL24rocblas_symm_hemm_kernelILb1ELb0ELi32E19rocblas_complex_numIfEPKPKS1_PKPS1_EvbiiT2_T3_lllSA_lllT4_llli
; %bb.0:
	s_clause 0x1
	s_load_b128 s[4:7], s[0:1], 0x0
	s_load_b32 s21, s[0:1], 0x10
	s_wait_kmcnt 0x0
	s_cmp_eq_f32 s7, 0
	s_cselect_b32 s2, -1, 0
	s_cmp_eq_f32 s21, 0
	s_cselect_b32 s3, -1, 0
	s_delay_alu instid0(SALU_CYCLE_1) | instskip(NEXT) | instid1(SALU_CYCLE_1)
	s_and_b32 s2, s2, s3
	s_and_b32 vcc_lo, exec_lo, s2
	s_cbranch_vccnz .LBB58_24
; %bb.1:
	s_load_b32 s33, s[0:1], 0x78
	s_bfe_u32 s2, ttmp6, 0x40014
	s_lshr_b32 s8, ttmp7, 16
	s_add_co_i32 s2, s2, 1
	s_bfe_u32 s9, ttmp6, 0x40008
	s_mul_i32 s2, s8, s2
	s_getreg_b32 s3, hwreg(HW_REG_IB_STS2, 6, 4)
	s_add_co_i32 s9, s9, s2
	s_cmp_eq_u32 s3, 0
	s_cselect_b32 s34, s8, s9
	s_wait_kmcnt 0x0
	s_cmp_ge_u32 s34, s33
	s_cbranch_scc1 .LBB58_24
; %bb.2:
	s_bitcmp1_b32 s4, 0
	s_load_b64 s[22:23], s[0:1], 0x28
	s_cselect_b32 s2, -1, 0
	s_add_co_i32 s4, s6, -1
	s_bfe_u32 s10, ttmp6, 0x4000c
	s_ashr_i32 s8, s4, 31
	s_add_co_i32 s10, s10, 1
	s_lshr_b32 s8, s8, 27
	s_and_b32 s35, ttmp7, 0xffff
	s_add_co_i32 s4, s4, s8
	s_bfe_u32 s8, ttmp6, 0x40010
	s_and_b32 s9, ttmp6, 15
	s_add_co_i32 s8, s8, 1
	s_mul_i32 s10, ttmp9, s10
	s_mul_i32 s8, s35, s8
	s_bfe_u32 s11, ttmp6, 0x40004
	s_ashr_i32 s4, s4, 5
	s_add_co_i32 s9, s9, s10
	s_add_co_i32 s36, s11, s8
	v_and_b32_e32 v26, 0x3ff, v0
	s_cmp_eq_u32 s3, 0
	v_bfe_u32 v27, v0, 10, 10
	s_cselect_b32 s3, ttmp9, s9
	s_load_b128 s[8:11], s[0:1], 0x18
	v_lshl_add_u32 v2, s3, 5, v26
	s_clause 0x1
	s_load_b128 s[12:15], s[0:1], 0x38
	s_load_b64 s[24:25], s[0:1], 0x48
	v_lshlrev_b32_e32 v0, 3, v27
	s_clause 0x1
	s_load_b64 s[26:27], s[0:1], 0x68
	s_load_b128 s[16:19], s[0:1], 0x58
	v_lshlrev_b32_e32 v28, 8, v26
	v_ashrrev_i32_e32 v3, 31, v2
	s_mov_b32 s20, s7
	v_or_b32_e32 v29, 0x2000, v0
	s_mov_b32 s31, s7
	s_cselect_b32 s7, s35, s36
	s_wait_kmcnt 0x0
	v_mul_u64_e32 v[4:5], s[22:23], v[2:3]
	v_add_nc_u32_e32 v30, v28, v0
	v_lshlrev_b64_e32 v[0:1], 3, v[2:3]
	s_cmp_le_i32 s7, s4
	s_add_nc_u64 s[28:29], s[0:1], 0x80
	v_add_nc_u32_e32 v31, v29, v28
	v_cmp_gt_i32_e64 s0, s5, v2
	v_add_nc_u32_e32 v3, 0x800, v29
	v_add_nc_u32_e32 v32, 0x1000, v29
	;; [unrolled: 1-line block ×3, first 2 shown]
	s_cselect_b32 s35, -1, 0
	s_cmp_gt_i32 s5, 0
	s_mov_b32 s30, s21
	s_cselect_b32 s36, -1, 0
	s_lshl_b64 s[14:15], s[14:15], 3
	s_lshl_b64 s[18:19], s[18:19], 3
	;; [unrolled: 1-line block ×3, first 2 shown]
	v_lshlrev_b64_e32 v[4:5], 3, v[4:5]
	s_branch .LBB58_4
.LBB58_3:                               ;   in Loop: Header=BB58_4 Depth=1
	s_add_co_i32 s34, s34, 0x10000
	s_delay_alu instid0(SALU_CYCLE_1)
	s_cmp_lt_u32 s34, s33
	s_cbranch_scc0 .LBB58_24
.LBB58_4:                               ; =>This Loop Header: Depth=1
                                        ;     Child Loop BB58_7 Depth 2
                                        ;       Child Loop BB58_10 Depth 3
	s_and_not1_b32 vcc_lo, exec_lo, s35
	s_cbranch_vccnz .LBB58_3
; %bb.5:                                ;   in Loop: Header=BB58_4 Depth=1
	v_mov_b32_e32 v12, s34
	s_mov_b32 s38, s7
	s_clause 0x2
	global_load_b64 v[6:7], v12, s[8:9] scale_offset
	global_load_b64 v[8:9], v12, s[16:17] scale_offset
	;; [unrolled: 1-line block ×3, first 2 shown]
	s_load_b32 s37, s[28:29], 0x4
	s_wait_loadcnt 0x2
	v_add_nc_u64_e32 v[12:13], s[10:11], v[6:7]
	s_wait_loadcnt 0x1
	v_add_nc_u64_e32 v[14:15], s[18:19], v[8:9]
	;; [unrolled: 2-line block ×3, first 2 shown]
	s_delay_alu instid0(VALU_DEP_3) | instskip(SKIP_1) | instid1(VALU_DEP_4)
	v_add_nc_u64_e32 v[6:7], v[12:13], v[0:1]
	v_add_nc_u64_e32 v[10:11], v[12:13], v[4:5]
	;; [unrolled: 1-line block ×3, first 2 shown]
	s_delay_alu instid0(VALU_DEP_3)
	v_add_nc_u64_e32 v[14:15], v[6:7], v[4:5]
	s_branch .LBB58_7
.LBB58_6:                               ;   in Loop: Header=BB58_7 Depth=2
	s_wait_kmcnt 0x0
	s_add_co_i32 s38, s38, s37
	s_delay_alu instid0(SALU_CYCLE_1)
	s_cmp_gt_i32 s38, s4
	s_cbranch_scc1 .LBB58_3
.LBB58_7:                               ;   Parent Loop BB58_4 Depth=1
                                        ; =>  This Loop Header: Depth=2
                                        ;       Child Loop BB58_10 Depth 3
	s_and_not1_b32 vcc_lo, exec_lo, s36
	s_cbranch_vccnz .LBB58_6
; %bb.8:                                ;   in Loop: Header=BB58_7 Depth=2
	v_lshl_add_u32 v16, s38, 5, v27
	s_mov_b32 s40, 0
	s_delay_alu instid0(VALU_DEP_1) | instskip(SKIP_1) | instid1(VALU_DEP_2)
	v_ashrrev_i32_e32 v17, 31, v16
	v_cmp_gt_i32_e32 vcc_lo, s6, v16
	v_mul_u64_e32 v[18:19], s[24:25], v[16:17]
	v_mul_u64_e32 v[20:21], s[26:27], v[16:17]
	s_and_b32 s39, s0, vcc_lo
	s_delay_alu instid0(VALU_DEP_2) | instskip(NEXT) | instid1(VALU_DEP_2)
	v_lshl_add_u64 v[16:17], v[18:19], 3, v[8:9]
	v_lshl_add_u64 v[18:19], v[20:21], 3, v[12:13]
	s_branch .LBB58_10
.LBB58_9:                               ;   in Loop: Header=BB58_10 Depth=3
	s_wait_xcnt 0x0
	s_or_b32 exec_lo, exec_lo, s1
	s_add_co_i32 s40, s40, 32
	s_wait_storecnt_dscnt 0x0
	s_cmp_ge_i32 s40, s5
	s_barrier_signal -1
	s_barrier_wait -1
	s_cbranch_scc1 .LBB58_6
.LBB58_10:                              ;   Parent Loop BB58_4 Depth=1
                                        ;     Parent Loop BB58_7 Depth=2
                                        ; =>    This Inner Loop Header: Depth=3
	v_add_nc_u32_e32 v24, s40, v27
	s_mov_b32 s41, exec_lo
	s_delay_alu instid0(VALU_DEP_1) | instskip(NEXT) | instid1(VALU_DEP_1)
	v_dual_cndmask_b32 v21, v24, v2, s2 :: v_dual_cndmask_b32 v23, v2, v24, s2
	v_cmp_gt_i32_e64 s1, v21, v23
	s_delay_alu instid0(VALU_DEP_1) | instskip(SKIP_1) | instid1(VALU_DEP_2)
	v_dual_cndmask_b32 v20, v2, v24, s1 :: v_dual_cndmask_b32 v22, v24, v2, s1
	v_cmp_le_i32_e64 s1, v21, v23
	v_dual_mov_b32 v23, 0 :: v_dual_max_i32 v25, v20, v22
	v_dual_mov_b32 v20, 0 :: v_dual_mov_b32 v22, 0
	s_delay_alu instid0(VALU_DEP_2)
	v_cmpx_gt_i32_e64 s5, v25
	s_cbranch_execz .LBB58_20
; %bb.11:                               ;   in Loop: Header=BB58_10 Depth=3
                                        ; implicit-def: $vgpr23
	s_and_saveexec_b32 s3, s1
	s_delay_alu instid0(SALU_CYCLE_1)
	s_xor_b32 s3, exec_lo, s3
	s_cbranch_execz .LBB58_17
; %bb.12:                               ;   in Loop: Header=BB58_10 Depth=3
	v_cmp_ne_u32_e64 s1, v24, v2
                                        ; implicit-def: $vgpr23
	s_and_saveexec_b32 s42, s1
	s_delay_alu instid0(SALU_CYCLE_1)
	s_xor_b32 s1, exec_lo, s42
	s_cbranch_execz .LBB58_14
; %bb.13:                               ;   in Loop: Header=BB58_10 Depth=3
	v_ashrrev_i32_e32 v25, 31, v24
	s_delay_alu instid0(VALU_DEP_1) | instskip(NEXT) | instid1(VALU_DEP_1)
	v_mul_u64_e32 v[22:23], s[22:23], v[24:25]
	v_lshl_add_u64 v[22:23], v[22:23], 3, v[6:7]
	flat_load_b64 v[22:23], v[22:23]
.LBB58_14:                              ;   in Loop: Header=BB58_10 Depth=3
	s_wait_xcnt 0x0
	s_and_not1_saveexec_b32 s1, s1
	s_cbranch_execz .LBB58_16
; %bb.15:                               ;   in Loop: Header=BB58_10 Depth=3
	s_wait_loadcnt_dscnt 0x0
	flat_load_b32 v22, v[14:15]
	v_mov_b32_e32 v23, 0
.LBB58_16:                              ;   in Loop: Header=BB58_10 Depth=3
	s_wait_xcnt 0x0
	s_or_b32 exec_lo, exec_lo, s1
                                        ; implicit-def: $vgpr24
.LBB58_17:                              ;   in Loop: Header=BB58_10 Depth=3
	s_and_not1_saveexec_b32 s1, s3
	s_cbranch_execz .LBB58_19
; %bb.18:                               ;   in Loop: Header=BB58_10 Depth=3
	v_ashrrev_i32_e32 v25, 31, v24
	s_wait_loadcnt_dscnt 0x0
	s_delay_alu instid0(VALU_DEP_1)
	v_lshl_add_u64 v[22:23], v[24:25], 3, v[10:11]
	flat_load_b64 v[22:23], v[22:23]
	s_wait_loadcnt_dscnt 0x0
	v_xor_b32_e32 v23, 0x80000000, v23
.LBB58_19:                              ;   in Loop: Header=BB58_10 Depth=3
	s_or_b32 exec_lo, exec_lo, s1
.LBB58_20:                              ;   in Loop: Header=BB58_10 Depth=3
	s_delay_alu instid0(SALU_CYCLE_1)
	s_or_b32 exec_lo, exec_lo, s41
	v_dual_mov_b32 v21, 0 :: v_dual_add_nc_u32 v24, s40, v26
	s_wait_loadcnt_dscnt 0x0
	ds_store_b64 v30, v[22:23]
	v_cmp_gt_i32_e64 s1, s5, v24
	s_and_b32 s3, s1, vcc_lo
	s_delay_alu instid0(SALU_CYCLE_1)
	s_and_saveexec_b32 s1, s3
	s_cbranch_execz .LBB58_22
; %bb.21:                               ;   in Loop: Header=BB58_10 Depth=3
	v_ashrrev_i32_e32 v25, 31, v24
	s_delay_alu instid0(VALU_DEP_1)
	v_lshl_add_u64 v[20:21], v[24:25], 3, v[16:17]
	flat_load_b64 v[20:21], v[20:21]
.LBB58_22:                              ;   in Loop: Header=BB58_10 Depth=3
	s_wait_xcnt 0x0
	s_or_b32 exec_lo, exec_lo, s1
	s_wait_loadcnt_dscnt 0x0
	ds_store_b64 v31, v[20:21]
	s_wait_dscnt 0x0
	s_barrier_signal -1
	s_barrier_wait -1
	s_and_saveexec_b32 s1, s39
	s_cbranch_execz .LBB58_9
; %bb.23:                               ;   in Loop: Header=BB58_10 Depth=3
	flat_load_b64 v[20:21], v[18:19]
	ds_load_2addr_b64 v[22:25], v29 offset1:32
	ds_load_b128 v[34:37], v28
	ds_load_b128 v[38:41], v28 offset:16
	ds_load_2addr_b64 v[42:45], v29 offset0:64 offset1:96
	ds_load_b128 v[46:49], v28 offset:32
	s_wait_dscnt 0x3
	v_dual_mul_f32 v50, v23, v35 :: v_dual_mul_f32 v35, v22, v35
	s_wait_dscnt 0x1
	v_dual_mul_f32 v55, v43, v39 :: v_dual_mul_f32 v39, v42, v39
	s_delay_alu instid0(VALU_DEP_2)
	v_dual_fma_f32 v22, v22, v34, -v50 :: v_dual_fmac_f32 v35, v23, v34
	v_dual_mul_f32 v23, v25, v37 :: v_dual_mul_f32 v34, v24, v37
	ds_load_2addr_b64 v[50:53], v29 offset0:128 offset1:160
	v_dual_add_f32 v37, 0, v22 :: v_dual_add_f32 v35, 0, v35
	v_dual_fma_f32 v54, v24, v36, -v23 :: v_dual_fmac_f32 v34, v25, v36
	ds_load_b128 v[22:25], v28 offset:48
	v_fmac_f32_e32 v39, v43, v38
	v_add_f32_e32 v36, v37, v54
	v_dual_fma_f32 v37, v42, v38, -v55 :: v_dual_mul_f32 v38, v45, v41
	v_dual_mul_f32 v41, v44, v41 :: v_dual_add_f32 v42, v35, v34
	s_delay_alu instid0(VALU_DEP_2) | instskip(SKIP_4) | instid1(VALU_DEP_2)
	v_add_f32_e32 v43, v36, v37
	ds_load_2addr_b64 v[34:37], v29 offset0:192 offset1:224
	v_dual_fma_f32 v38, v44, v40, -v38 :: v_dual_add_f32 v39, v42, v39
	s_wait_dscnt 0x2
	v_dual_fmac_f32 v41, v45, v40 :: v_dual_mul_f32 v40, v51, v47
	v_dual_mul_f32 v47, v50, v47 :: v_dual_add_f32 v54, v43, v38
	s_delay_alu instid0(VALU_DEP_2) | instskip(SKIP_4) | instid1(VALU_DEP_2)
	v_dual_add_f32 v55, v39, v41 :: v_dual_fma_f32 v50, v50, v46, -v40
	ds_load_b128 v[38:41], v28 offset:64
	ds_load_2addr_b64 v[42:45], v3 offset1:32
	v_dual_fmac_f32 v47, v51, v46 :: v_dual_mul_f32 v46, v53, v49
	v_dual_mul_f32 v49, v52, v49 :: v_dual_add_f32 v50, v54, v50
	v_dual_add_f32 v47, v55, v47 :: v_dual_fma_f32 v46, v52, v48, -v46
	s_wait_dscnt 0x2
	s_delay_alu instid0(VALU_DEP_2) | instskip(SKIP_1) | instid1(VALU_DEP_2)
	v_dual_fmac_f32 v49, v53, v48 :: v_dual_mul_f32 v48, v35, v23
	v_mul_f32_e32 v23, v34, v23
	v_dual_add_f32 v54, v50, v46 :: v_dual_add_f32 v55, v47, v49
	s_delay_alu instid0(VALU_DEP_2)
	v_dual_fma_f32 v34, v34, v22, -v48 :: v_dual_fmac_f32 v23, v35, v22
	v_dual_mul_f32 v22, v37, v25 :: v_dual_mul_f32 v25, v36, v25
	ds_load_b128 v[46:49], v28 offset:80
	ds_load_2addr_b64 v[50:53], v3 offset0:64 offset1:96
	s_wait_dscnt 0x2
	v_dual_add_f32 v34, v54, v34 :: v_dual_mul_f32 v35, v43, v39
	v_dual_fma_f32 v22, v36, v24, -v22 :: v_dual_add_f32 v23, v55, v23
	v_dual_fmac_f32 v25, v37, v24 :: v_dual_mul_f32 v39, v42, v39
	s_delay_alu instid0(VALU_DEP_3) | instskip(NEXT) | instid1(VALU_DEP_2)
	v_fma_f32 v24, v42, v38, -v35
	v_dual_add_f32 v22, v34, v22 :: v_dual_add_f32 v42, v23, v25
	s_delay_alu instid0(VALU_DEP_3) | instskip(NEXT) | instid1(VALU_DEP_2)
	v_dual_fmac_f32 v39, v43, v38 :: v_dual_mul_f32 v38, v45, v41
	v_add_f32_e32 v43, v22, v24
	ds_load_b128 v[22:25], v28 offset:96
	ds_load_2addr_b64 v[34:37], v3 offset0:128 offset1:160
	v_dual_mul_f32 v41, v44, v41 :: v_dual_fma_f32 v38, v44, v40, -v38
	v_add_f32_e32 v39, v42, v39
	s_wait_dscnt 0x2
	s_delay_alu instid0(VALU_DEP_2) | instskip(NEXT) | instid1(VALU_DEP_3)
	v_dual_mul_f32 v44, v51, v47 :: v_dual_fmac_f32 v41, v45, v40
	v_dual_add_f32 v38, v43, v38 :: v_dual_mul_f32 v47, v50, v47
	s_delay_alu instid0(VALU_DEP_2) | instskip(NEXT) | instid1(VALU_DEP_3)
	v_dual_fma_f32 v40, v50, v46, -v44 :: v_dual_mul_f32 v42, v53, v49
	v_add_f32_e32 v50, v39, v41
	s_delay_alu instid0(VALU_DEP_3) | instskip(NEXT) | instid1(VALU_DEP_3)
	v_dual_fmac_f32 v47, v51, v46 :: v_dual_mul_f32 v49, v52, v49
	v_add_f32_e32 v46, v38, v40
	s_delay_alu instid0(VALU_DEP_4) | instskip(SKIP_4) | instid1(VALU_DEP_1)
	v_fma_f32 v51, v52, v48, -v42
	ds_load_b128 v[38:41], v28 offset:112
	ds_load_2addr_b64 v[42:45], v3 offset0:192 offset1:224
	s_wait_dscnt 0x2
	v_dual_mul_f32 v52, v35, v23 :: v_dual_fmac_f32 v49, v53, v48
	v_dual_mul_f32 v23, v34, v23 :: v_dual_fma_f32 v34, v34, v22, -v52
	s_delay_alu instid0(VALU_DEP_1) | instskip(NEXT) | instid1(VALU_DEP_1)
	v_dual_add_f32 v47, v50, v47 :: v_dual_fmac_f32 v23, v35, v22
	v_dual_add_f32 v46, v46, v51 :: v_dual_add_f32 v54, v47, v49
	s_delay_alu instid0(VALU_DEP_1) | instskip(NEXT) | instid1(VALU_DEP_2)
	v_dual_add_f32 v22, v46, v34 :: v_dual_mul_f32 v34, v37, v25
	v_dual_mul_f32 v25, v36, v25 :: v_dual_add_f32 v23, v54, v23
	ds_load_b128 v[46:49], v28 offset:128
	ds_load_2addr_b64 v[50:53], v32 offset1:32
	v_dual_fma_f32 v34, v36, v24, -v34 :: v_dual_fmac_f32 v25, v37, v24
	s_wait_dscnt 0x2
	v_dual_mul_f32 v24, v43, v39 :: v_dual_mul_f32 v39, v42, v39
	s_delay_alu instid0(VALU_DEP_2) | instskip(NEXT) | instid1(VALU_DEP_2)
	v_dual_add_f32 v54, v22, v34 :: v_dual_add_f32 v55, v23, v25
	v_dual_fma_f32 v42, v42, v38, -v24 :: v_dual_fmac_f32 v39, v43, v38
	ds_load_b128 v[22:25], v28 offset:144
	ds_load_2addr_b64 v[34:37], v32 offset0:64 offset1:96
	v_dual_mul_f32 v38, v45, v41 :: v_dual_mul_f32 v41, v44, v41
	v_dual_add_f32 v42, v54, v42 :: v_dual_add_f32 v39, v55, v39
	s_delay_alu instid0(VALU_DEP_2) | instskip(SKIP_2) | instid1(VALU_DEP_2)
	v_dual_fma_f32 v38, v44, v40, -v38 :: v_dual_fmac_f32 v41, v45, v40
	s_wait_dscnt 0x2
	v_dual_mul_f32 v40, v51, v47 :: v_dual_mul_f32 v47, v50, v47
	v_dual_add_f32 v54, v42, v38 :: v_dual_add_f32 v55, v39, v41
	s_delay_alu instid0(VALU_DEP_2)
	v_dual_fma_f32 v50, v50, v46, -v40 :: v_dual_fmac_f32 v47, v51, v46
	v_dual_mul_f32 v46, v53, v49 :: v_dual_mul_f32 v49, v52, v49
	ds_load_b128 v[38:41], v28 offset:160
	ds_load_2addr_b64 v[42:45], v32 offset0:128 offset1:160
	s_wait_dscnt 0x2
	v_dual_add_f32 v50, v54, v50 :: v_dual_mul_f32 v51, v35, v23
	v_dual_fma_f32 v46, v52, v48, -v46 :: v_dual_add_f32 v47, v55, v47
	v_dual_fmac_f32 v49, v53, v48 :: v_dual_mul_f32 v23, v34, v23
	s_delay_alu instid0(VALU_DEP_3) | instskip(NEXT) | instid1(VALU_DEP_2)
	v_fma_f32 v34, v34, v22, -v51
	v_dual_add_f32 v46, v50, v46 :: v_dual_add_f32 v54, v47, v49
	s_delay_alu instid0(VALU_DEP_3) | instskip(NEXT) | instid1(VALU_DEP_2)
	v_dual_fmac_f32 v23, v35, v22 :: v_dual_mul_f32 v22, v37, v25
	v_add_f32_e32 v34, v46, v34
	ds_load_b128 v[46:49], v28 offset:176
	ds_load_2addr_b64 v[50:53], v32 offset0:192 offset1:224
	v_dual_mul_f32 v25, v36, v25 :: v_dual_add_f32 v23, v54, v23
	s_wait_dscnt 0x2
	v_dual_fma_f32 v22, v36, v24, -v22 :: v_dual_mul_f32 v35, v43, v39
	s_delay_alu instid0(VALU_DEP_1) | instskip(SKIP_1) | instid1(VALU_DEP_2)
	v_dual_fmac_f32 v25, v37, v24 :: v_dual_add_f32 v22, v34, v22
	v_dual_mul_f32 v39, v42, v39 :: v_dual_mul_f32 v34, v45, v41
	v_dual_fma_f32 v24, v42, v38, -v35 :: v_dual_add_f32 v42, v23, v25
	s_delay_alu instid0(VALU_DEP_2) | instskip(NEXT) | instid1(VALU_DEP_3)
	v_dual_mul_f32 v41, v44, v41 :: v_dual_fmac_f32 v39, v43, v38
	v_fma_f32 v43, v44, v40, -v34
	s_delay_alu instid0(VALU_DEP_3) | instskip(SKIP_4) | instid1(VALU_DEP_1)
	v_add_f32_e32 v38, v22, v24
	ds_load_b128 v[22:25], v28 offset:192
	ds_load_2addr_b64 v[34:37], v33 offset1:32
	s_wait_dscnt 0x2
	v_dual_fmac_f32 v41, v45, v40 :: v_dual_mul_f32 v44, v51, v47
	v_dual_mul_f32 v47, v50, v47 :: v_dual_fma_f32 v40, v50, v46, -v44
	s_delay_alu instid0(VALU_DEP_1) | instskip(SKIP_1) | instid1(VALU_DEP_2)
	v_dual_add_f32 v39, v42, v39 :: v_dual_fmac_f32 v47, v51, v46
	v_dual_add_f32 v38, v38, v43 :: v_dual_mul_f32 v51, v53, v49
	v_add_f32_e32 v50, v39, v41
	s_delay_alu instid0(VALU_DEP_2)
	v_dual_mul_f32 v49, v52, v49 :: v_dual_add_f32 v46, v38, v40
	ds_load_b128 v[38:41], v28 offset:208
	ds_load_2addr_b64 v[42:45], v33 offset0:64 offset1:96
	v_dual_add_f32 v47, v50, v47 :: v_dual_fma_f32 v50, v52, v48, -v51
	s_wait_dscnt 0x2
	v_dual_fmac_f32 v49, v53, v48 :: v_dual_mul_f32 v48, v35, v23
	v_mul_f32_e32 v23, v34, v23
	s_delay_alu instid0(VALU_DEP_2) | instskip(NEXT) | instid1(VALU_DEP_2)
	v_dual_add_f32 v54, v46, v50 :: v_dual_add_f32 v55, v47, v49
	v_dual_fma_f32 v34, v34, v22, -v48 :: v_dual_fmac_f32 v23, v35, v22
	v_dual_mul_f32 v22, v37, v25 :: v_dual_mul_f32 v25, v36, v25
	ds_load_b128 v[46:49], v28 offset:224
	ds_load_2addr_b64 v[50:53], v33 offset0:128 offset1:160
	v_dual_add_f32 v34, v54, v34 :: v_dual_add_f32 v23, v55, v23
	v_dual_fma_f32 v22, v36, v24, -v22 :: v_dual_fmac_f32 v25, v37, v24
	s_wait_dscnt 0x2
	v_dual_mul_f32 v54, v42, v39 :: v_dual_mul_f32 v39, v43, v39
	s_delay_alu instid0(VALU_DEP_2) | instskip(SKIP_4) | instid1(VALU_DEP_2)
	v_dual_add_f32 v55, v34, v22 :: v_dual_add_f32 v56, v23, v25
	ds_load_b128 v[22:25], v28 offset:240
	ds_load_2addr_b64 v[34:37], v33 offset0:192 offset1:224
	v_dual_fmac_f32 v54, v43, v38 :: v_dual_mul_f32 v43, v44, v41
	v_dual_fma_f32 v38, v42, v38, -v39 :: v_dual_mul_f32 v41, v45, v41
	v_dual_add_f32 v39, v56, v54 :: v_dual_fmac_f32 v43, v45, v40
	s_delay_alu instid0(VALU_DEP_2) | instskip(SKIP_2) | instid1(VALU_DEP_3)
	v_dual_add_f32 v38, v55, v38 :: v_dual_fma_f32 v40, v44, v40, -v41
	s_wait_dscnt 0x2
	v_dual_mul_f32 v42, v50, v47 :: v_dual_mul_f32 v41, v51, v47
	v_dual_add_f32 v39, v39, v43 :: v_dual_mul_f32 v43, v52, v49
	s_delay_alu instid0(VALU_DEP_2) | instskip(NEXT) | instid1(VALU_DEP_3)
	v_dual_add_f32 v38, v38, v40 :: v_dual_fmac_f32 v42, v51, v46
	v_dual_fma_f32 v40, v50, v46, -v41 :: v_dual_mul_f32 v41, v53, v49
	s_delay_alu instid0(VALU_DEP_2) | instskip(SKIP_2) | instid1(VALU_DEP_3)
	v_dual_fmac_f32 v43, v53, v48 :: v_dual_add_f32 v39, v39, v42
	s_wait_dscnt 0x0
	v_mul_f32_e32 v42, v34, v23
	v_add_f32_e32 v38, v38, v40
	v_dual_fma_f32 v40, v52, v48, -v41 :: v_dual_mul_f32 v23, v35, v23
	v_add_f32_e32 v39, v39, v43
	s_delay_alu instid0(VALU_DEP_4) | instskip(NEXT) | instid1(VALU_DEP_3)
	v_dual_fmac_f32 v42, v35, v22 :: v_dual_mul_f32 v35, v36, v25
	v_add_f32_e32 v38, v38, v40
	s_delay_alu instid0(VALU_DEP_4) | instskip(NEXT) | instid1(VALU_DEP_3)
	v_dual_fma_f32 v22, v34, v22, -v23 :: v_dual_mul_f32 v25, v37, v25
	v_dual_add_f32 v23, v39, v42 :: v_dual_fmac_f32 v35, v37, v24
	s_delay_alu instid0(VALU_DEP_2) | instskip(SKIP_1) | instid1(VALU_DEP_2)
	v_dual_add_f32 v34, v38, v22 :: v_dual_fma_f32 v36, v36, v24, -v25
	v_mov_b64_e32 v[24:25], s[30:31]
	v_dual_add_f32 v22, v23, v35 :: v_dual_add_f32 v34, v34, v36
	s_delay_alu instid0(VALU_DEP_1) | instskip(SKIP_1) | instid1(VALU_DEP_1)
	v_pk_mul_f32 v[22:23], v[24:25], v[22:23] op_sel_hi:[1,0]
	v_mov_b64_e32 v[24:25], s[20:21]
	v_pk_fma_f32 v[36:37], v[24:25], v[34:35], v[22:23] op_sel_hi:[1,0,1]
	v_pk_fma_f32 v[22:23], v[24:25], v[34:35], v[22:23] neg_lo:[0,0,1] neg_hi:[0,0,1]
	s_delay_alu instid0(VALU_DEP_2) | instskip(SKIP_1) | instid1(VALU_DEP_1)
	v_mov_b32_e32 v23, v37
	s_wait_loadcnt 0x0
	v_pk_add_f32 v[20:21], v[20:21], v[22:23]
	flat_store_b64 v[18:19], v[20:21]
	s_branch .LBB58_9
.LBB58_24:
	s_endpgm
	.section	.rodata,"a",@progbits
	.p2align	6, 0x0
	.amdhsa_kernel _ZL24rocblas_symm_hemm_kernelILb1ELb0ELi32E19rocblas_complex_numIfEPKPKS1_PKPS1_EvbiiT2_T3_lllSA_lllT4_llli
		.amdhsa_group_segment_fixed_size 16384
		.amdhsa_private_segment_fixed_size 0
		.amdhsa_kernarg_size 384
		.amdhsa_user_sgpr_count 2
		.amdhsa_user_sgpr_dispatch_ptr 0
		.amdhsa_user_sgpr_queue_ptr 0
		.amdhsa_user_sgpr_kernarg_segment_ptr 1
		.amdhsa_user_sgpr_dispatch_id 0
		.amdhsa_user_sgpr_kernarg_preload_length 0
		.amdhsa_user_sgpr_kernarg_preload_offset 0
		.amdhsa_user_sgpr_private_segment_size 0
		.amdhsa_wavefront_size32 1
		.amdhsa_uses_dynamic_stack 0
		.amdhsa_enable_private_segment 0
		.amdhsa_system_sgpr_workgroup_id_x 1
		.amdhsa_system_sgpr_workgroup_id_y 1
		.amdhsa_system_sgpr_workgroup_id_z 1
		.amdhsa_system_sgpr_workgroup_info 0
		.amdhsa_system_vgpr_workitem_id 1
		.amdhsa_next_free_vgpr 57
		.amdhsa_next_free_sgpr 43
		.amdhsa_named_barrier_count 0
		.amdhsa_reserve_vcc 1
		.amdhsa_float_round_mode_32 0
		.amdhsa_float_round_mode_16_64 0
		.amdhsa_float_denorm_mode_32 3
		.amdhsa_float_denorm_mode_16_64 3
		.amdhsa_fp16_overflow 0
		.amdhsa_memory_ordered 1
		.amdhsa_forward_progress 1
		.amdhsa_inst_pref_size 21
		.amdhsa_round_robin_scheduling 0
		.amdhsa_exception_fp_ieee_invalid_op 0
		.amdhsa_exception_fp_denorm_src 0
		.amdhsa_exception_fp_ieee_div_zero 0
		.amdhsa_exception_fp_ieee_overflow 0
		.amdhsa_exception_fp_ieee_underflow 0
		.amdhsa_exception_fp_ieee_inexact 0
		.amdhsa_exception_int_div_zero 0
	.end_amdhsa_kernel
	.section	.text._ZL24rocblas_symm_hemm_kernelILb1ELb0ELi32E19rocblas_complex_numIfEPKPKS1_PKPS1_EvbiiT2_T3_lllSA_lllT4_llli,"axG",@progbits,_ZL24rocblas_symm_hemm_kernelILb1ELb0ELi32E19rocblas_complex_numIfEPKPKS1_PKPS1_EvbiiT2_T3_lllSA_lllT4_llli,comdat
.Lfunc_end58:
	.size	_ZL24rocblas_symm_hemm_kernelILb1ELb0ELi32E19rocblas_complex_numIfEPKPKS1_PKPS1_EvbiiT2_T3_lllSA_lllT4_llli, .Lfunc_end58-_ZL24rocblas_symm_hemm_kernelILb1ELb0ELi32E19rocblas_complex_numIfEPKPKS1_PKPS1_EvbiiT2_T3_lllSA_lllT4_llli
                                        ; -- End function
	.set _ZL24rocblas_symm_hemm_kernelILb1ELb0ELi32E19rocblas_complex_numIfEPKPKS1_PKPS1_EvbiiT2_T3_lllSA_lllT4_llli.num_vgpr, 57
	.set _ZL24rocblas_symm_hemm_kernelILb1ELb0ELi32E19rocblas_complex_numIfEPKPKS1_PKPS1_EvbiiT2_T3_lllSA_lllT4_llli.num_agpr, 0
	.set _ZL24rocblas_symm_hemm_kernelILb1ELb0ELi32E19rocblas_complex_numIfEPKPKS1_PKPS1_EvbiiT2_T3_lllSA_lllT4_llli.numbered_sgpr, 43
	.set _ZL24rocblas_symm_hemm_kernelILb1ELb0ELi32E19rocblas_complex_numIfEPKPKS1_PKPS1_EvbiiT2_T3_lllSA_lllT4_llli.num_named_barrier, 0
	.set _ZL24rocblas_symm_hemm_kernelILb1ELb0ELi32E19rocblas_complex_numIfEPKPKS1_PKPS1_EvbiiT2_T3_lllSA_lllT4_llli.private_seg_size, 0
	.set _ZL24rocblas_symm_hemm_kernelILb1ELb0ELi32E19rocblas_complex_numIfEPKPKS1_PKPS1_EvbiiT2_T3_lllSA_lllT4_llli.uses_vcc, 1
	.set _ZL24rocblas_symm_hemm_kernelILb1ELb0ELi32E19rocblas_complex_numIfEPKPKS1_PKPS1_EvbiiT2_T3_lllSA_lllT4_llli.uses_flat_scratch, 0
	.set _ZL24rocblas_symm_hemm_kernelILb1ELb0ELi32E19rocblas_complex_numIfEPKPKS1_PKPS1_EvbiiT2_T3_lllSA_lllT4_llli.has_dyn_sized_stack, 0
	.set _ZL24rocblas_symm_hemm_kernelILb1ELb0ELi32E19rocblas_complex_numIfEPKPKS1_PKPS1_EvbiiT2_T3_lllSA_lllT4_llli.has_recursion, 0
	.set _ZL24rocblas_symm_hemm_kernelILb1ELb0ELi32E19rocblas_complex_numIfEPKPKS1_PKPS1_EvbiiT2_T3_lllSA_lllT4_llli.has_indirect_call, 0
	.section	.AMDGPU.csdata,"",@progbits
; Kernel info:
; codeLenInByte = 2576
; TotalNumSgprs: 45
; NumVgprs: 57
; ScratchSize: 0
; MemoryBound: 0
; FloatMode: 240
; IeeeMode: 1
; LDSByteSize: 16384 bytes/workgroup (compile time only)
; SGPRBlocks: 0
; VGPRBlocks: 3
; NumSGPRsForWavesPerEU: 45
; NumVGPRsForWavesPerEU: 57
; NamedBarCnt: 0
; Occupancy: 16
; WaveLimiterHint : 1
; COMPUTE_PGM_RSRC2:SCRATCH_EN: 0
; COMPUTE_PGM_RSRC2:USER_SGPR: 2
; COMPUTE_PGM_RSRC2:TRAP_HANDLER: 0
; COMPUTE_PGM_RSRC2:TGID_X_EN: 1
; COMPUTE_PGM_RSRC2:TGID_Y_EN: 1
; COMPUTE_PGM_RSRC2:TGID_Z_EN: 1
; COMPUTE_PGM_RSRC2:TIDIG_COMP_CNT: 1
	.section	.text._ZL24rocblas_symm_hemm_kernelILb1ELb1ELi32E19rocblas_complex_numIfEPKPKS1_PKPS1_EvbiiT2_T3_lllSA_lllT4_llli,"axG",@progbits,_ZL24rocblas_symm_hemm_kernelILb1ELb1ELi32E19rocblas_complex_numIfEPKPKS1_PKPS1_EvbiiT2_T3_lllSA_lllT4_llli,comdat
	.globl	_ZL24rocblas_symm_hemm_kernelILb1ELb1ELi32E19rocblas_complex_numIfEPKPKS1_PKPS1_EvbiiT2_T3_lllSA_lllT4_llli ; -- Begin function _ZL24rocblas_symm_hemm_kernelILb1ELb1ELi32E19rocblas_complex_numIfEPKPKS1_PKPS1_EvbiiT2_T3_lllSA_lllT4_llli
	.p2align	8
	.type	_ZL24rocblas_symm_hemm_kernelILb1ELb1ELi32E19rocblas_complex_numIfEPKPKS1_PKPS1_EvbiiT2_T3_lllSA_lllT4_llli,@function
_ZL24rocblas_symm_hemm_kernelILb1ELb1ELi32E19rocblas_complex_numIfEPKPKS1_PKPS1_EvbiiT2_T3_lllSA_lllT4_llli: ; @_ZL24rocblas_symm_hemm_kernelILb1ELb1ELi32E19rocblas_complex_numIfEPKPKS1_PKPS1_EvbiiT2_T3_lllSA_lllT4_llli
; %bb.0:
	s_clause 0x1
	s_load_b128 s[4:7], s[0:1], 0x0
	s_load_b32 s21, s[0:1], 0x10
	s_wait_kmcnt 0x0
	s_cmp_eq_f32 s7, 0
	s_cselect_b32 s2, -1, 0
	s_cmp_eq_f32 s21, 0
	s_cselect_b32 s3, -1, 0
	s_delay_alu instid0(SALU_CYCLE_1) | instskip(NEXT) | instid1(SALU_CYCLE_1)
	s_and_b32 s2, s2, s3
	s_and_b32 vcc_lo, exec_lo, s2
	s_cbranch_vccnz .LBB59_24
; %bb.1:
	s_load_b32 s30, s[0:1], 0x78
	s_bfe_u32 s2, ttmp6, 0x40014
	s_lshr_b32 s8, ttmp7, 16
	s_add_co_i32 s2, s2, 1
	s_bfe_u32 s9, ttmp6, 0x40008
	s_mul_i32 s2, s8, s2
	s_getreg_b32 s3, hwreg(HW_REG_IB_STS2, 6, 4)
	s_add_co_i32 s9, s9, s2
	s_cmp_eq_u32 s3, 0
	s_cselect_b32 s31, s8, s9
	s_wait_kmcnt 0x0
	s_cmp_ge_u32 s31, s30
	s_cbranch_scc1 .LBB59_24
; %bb.2:
	s_bitcmp1_b32 s4, 0
	s_clause 0x1
	s_load_b128 s[8:11], s[0:1], 0x18
	s_load_b64 s[22:23], s[0:1], 0x28
	s_cselect_b32 s2, -1, 0
	s_add_co_i32 s4, s6, -1
	s_bfe_u32 s29, ttmp6, 0x40010
	s_ashr_i32 s12, s4, 31
	s_and_b32 s34, ttmp7, 0xffff
	s_lshr_b32 s16, s12, 27
	s_add_co_i32 s29, s29, 1
	s_add_co_i32 s4, s4, s16
	s_and_b32 s28, ttmp6, 15
	s_ashr_i32 s33, s4, 5
	s_bfe_u32 s4, ttmp6, 0x4000c
	s_mul_i32 s29, s34, s29
	s_add_co_i32 s4, s4, 1
	s_bfe_u32 s35, ttmp6, 0x40004
	s_mul_i32 s4, ttmp9, s4
	s_clause 0x3
	s_load_b128 s[12:15], s[0:1], 0x38
	s_load_b64 s[24:25], s[0:1], 0x48
	s_load_b64 s[26:27], s[0:1], 0x68
	s_load_b128 s[16:19], s[0:1], 0x58
	s_add_co_i32 s28, s28, s4
	s_add_co_i32 s35, s35, s29
	v_and_b32_e32 v25, 0x3ff, v0
	s_cmp_eq_u32 s3, 0
	v_bfe_u32 v24, v0, 10, 10
	s_cselect_b32 s3, ttmp9, s28
	s_cselect_b32 s34, s34, s35
	v_lshl_add_u32 v0, s3, 5, v25
	s_delay_alu instid0(VALU_DEP_2) | instskip(SKIP_2) | instid1(VALU_DEP_2)
	v_dual_lshlrev_b32 v26, 8, v25 :: v_dual_lshlrev_b32 v2, 3, v24
	s_cmp_le_i32 s34, s33
	s_mov_b32 s20, s7
	v_ashrrev_i32_e32 v1, 31, v0
	v_cmp_gt_i32_e64 s3, s5, v0
	v_or_b32_e32 v27, 0x2000, v2
	v_add_nc_u32_e32 v28, v26, v2
	v_lshl_add_u32 v2, s34, 5, v24
	v_lshlrev_b64_e32 v[0:1], 3, v[0:1]
	s_cselect_b32 s35, -1, 0
	v_add_nc_u32_e32 v29, v27, v26
	v_add_nc_u32_e32 v31, 0x800, v27
	v_sub_nc_u32_e32 v30, 0, v2
	v_add_nc_u32_e32 v32, 0x1000, v27
	v_add_nc_u32_e32 v33, 0x1800, v27
	s_cmp_gt_i32 s6, 0
	s_add_nc_u64 s[4:5], s[0:1], 0x80
	s_mov_b32 s28, s21
	s_mov_b32 s29, s7
	s_wait_xcnt 0x0
	s_cselect_b32 s1, -1, 0
	s_wait_kmcnt 0x0
	s_lshl_b64 s[10:11], s[10:11], 3
	s_lshl_b64 s[18:19], s[18:19], 3
	;; [unrolled: 1-line block ×3, first 2 shown]
	s_branch .LBB59_4
.LBB59_3:                               ;   in Loop: Header=BB59_4 Depth=1
	s_add_co_i32 s31, s31, 0x10000
	s_delay_alu instid0(SALU_CYCLE_1)
	s_cmp_lt_u32 s31, s30
	s_cbranch_scc0 .LBB59_24
.LBB59_4:                               ; =>This Loop Header: Depth=1
                                        ;     Child Loop BB59_7 Depth 2
                                        ;       Child Loop BB59_10 Depth 3
	s_and_not1_b32 vcc_lo, exec_lo, s35
	s_cbranch_vccnz .LBB59_3
; %bb.5:                                ;   in Loop: Header=BB59_4 Depth=1
	v_dual_mov_b32 v8, s31 :: v_dual_mov_b32 v34, v30
	s_mov_b32 s37, s34
	s_clause 0x2
	global_load_b64 v[2:3], v8, s[12:13] scale_offset
	global_load_b64 v[4:5], v8, s[16:17] scale_offset
	;; [unrolled: 1-line block ×3, first 2 shown]
	s_load_b32 s7, s[4:5], 0x4
	s_wait_kmcnt 0x0
	s_lshl_b32 s36, s7, 5
	s_wait_loadcnt 0x2
	v_add_nc_u64_e32 v[8:9], s[14:15], v[2:3]
	s_wait_loadcnt 0x1
	v_add_nc_u64_e32 v[10:11], s[18:19], v[4:5]
	;; [unrolled: 2-line block ×3, first 2 shown]
	s_delay_alu instid0(VALU_DEP_3) | instskip(NEXT) | instid1(VALU_DEP_3)
	v_add_nc_u64_e32 v[4:5], v[8:9], v[0:1]
	v_add_nc_u64_e32 v[6:7], v[10:11], v[0:1]
	s_branch .LBB59_7
.LBB59_6:                               ;   in Loop: Header=BB59_7 Depth=2
	v_subrev_nc_u32_e32 v34, s36, v34
	s_add_co_i32 s37, s37, s7
	s_delay_alu instid0(SALU_CYCLE_1)
	s_cmp_gt_i32 s37, s33
	s_cbranch_scc1 .LBB59_3
.LBB59_7:                               ;   Parent Loop BB59_4 Depth=1
                                        ; =>  This Loop Header: Depth=2
                                        ;       Child Loop BB59_10 Depth 3
	s_and_not1_b32 vcc_lo, exec_lo, s1
	s_cbranch_vccnz .LBB59_6
; %bb.8:                                ;   in Loop: Header=BB59_7 Depth=2
	v_lshl_add_u32 v8, s37, 5, v24
	s_mov_b32 s39, 0
	s_delay_alu instid0(VALU_DEP_1) | instskip(SKIP_1) | instid1(VALU_DEP_2)
	v_ashrrev_i32_e32 v9, 31, v8
	v_cmp_gt_i32_e32 vcc_lo, s6, v8
	v_mul_u64_e32 v[10:11], s[22:23], v[8:9]
	v_mul_u64_e32 v[16:17], s[26:27], v[8:9]
	v_lshlrev_b64_e32 v[14:15], 3, v[8:9]
	v_add_nc_u32_e32 v9, v25, v34
	s_and_b32 s38, s3, vcc_lo
	s_delay_alu instid0(VALU_DEP_2) | instskip(SKIP_2) | instid1(VALU_DEP_2)
	v_add_nc_u64_e32 v[12:13], v[2:3], v[14:15]
	v_lshl_add_u64 v[10:11], v[10:11], 3, v[2:3]
	v_lshl_add_u64 v[16:17], v[16:17], 3, v[6:7]
	v_add_nc_u64_e32 v[14:15], v[10:11], v[14:15]
	s_branch .LBB59_10
.LBB59_9:                               ;   in Loop: Header=BB59_10 Depth=3
	s_wait_xcnt 0x0
	s_or_b32 exec_lo, exec_lo, s0
	s_add_co_i32 s39, s39, 32
	s_wait_storecnt_dscnt 0x0
	s_cmp_ge_i32 s39, s6
	s_barrier_signal -1
	s_barrier_wait -1
	s_cbranch_scc1 .LBB59_6
.LBB59_10:                              ;   Parent Loop BB59_4 Depth=1
                                        ;     Parent Loop BB59_7 Depth=2
                                        ; =>    This Inner Loop Header: Depth=3
	v_dual_add_nc_u32 v20, s39, v24 :: v_dual_mov_b32 v18, 0
	v_dual_mov_b32 v22, 0 :: v_dual_mov_b32 v23, 0
	s_delay_alu instid0(VALU_DEP_2) | instskip(SKIP_1) | instid1(SALU_CYCLE_1)
	v_cmp_gt_i32_e32 vcc_lo, s6, v20
	s_and_b32 s40, s3, vcc_lo
	s_and_saveexec_b32 s0, s40
	s_cbranch_execz .LBB59_12
; %bb.11:                               ;   in Loop: Header=BB59_10 Depth=3
	v_ashrrev_i32_e32 v21, 31, v20
	s_delay_alu instid0(VALU_DEP_1) | instskip(NEXT) | instid1(VALU_DEP_1)
	v_mul_u64_e32 v[20:21], s[24:25], v[20:21]
	v_lshl_add_u64 v[20:21], v[20:21], 3, v[4:5]
	flat_load_b64 v[22:23], v[20:21]
.LBB59_12:                              ;   in Loop: Header=BB59_10 Depth=3
	s_wait_xcnt 0x0
	s_or_b32 exec_lo, exec_lo, s0
	v_add_nc_u32_e32 v20, s39, v25
	s_mov_b32 s40, exec_lo
	s_wait_loadcnt_dscnt 0x0
	ds_store_b64 v28, v[22:23]
	v_cndmask_b32_e64 v19, v8, v20, s2
	v_cndmask_b32_e64 v21, v20, v8, s2
	s_delay_alu instid0(VALU_DEP_1) | instskip(SKIP_3) | instid1(VALU_DEP_2)
	v_cmp_gt_i32_e32 vcc_lo, v19, v21
	v_cndmask_b32_e32 v35, v20, v8, vcc_lo
	v_cndmask_b32_e32 v36, v8, v20, vcc_lo
	v_cmp_le_i32_e32 vcc_lo, v19, v21
	v_dual_mov_b32 v19, 0 :: v_dual_max_i32 v35, v35, v36
	s_delay_alu instid0(VALU_DEP_1)
	v_cmpx_gt_i32_e64 s6, v35
	s_cbranch_execz .LBB59_22
; %bb.13:                               ;   in Loop: Header=BB59_10 Depth=3
                                        ; implicit-def: $vgpr19
	s_and_saveexec_b32 s0, vcc_lo
	s_delay_alu instid0(SALU_CYCLE_1)
	s_xor_b32 s0, exec_lo, s0
	s_cbranch_execz .LBB59_19
; %bb.14:                               ;   in Loop: Header=BB59_10 Depth=3
	v_add_nc_u32_e32 v18, s39, v9
	s_delay_alu instid0(VALU_DEP_1) | instskip(SKIP_1) | instid1(SALU_CYCLE_1)
	v_cmp_ne_u32_e32 vcc_lo, 0, v18
                                        ; implicit-def: $vgpr19
	s_and_saveexec_b32 s41, vcc_lo
	s_xor_b32 s41, exec_lo, s41
	s_cbranch_execz .LBB59_16
; %bb.15:                               ;   in Loop: Header=BB59_10 Depth=3
	v_ashrrev_i32_e32 v21, 31, v20
	s_delay_alu instid0(VALU_DEP_1)
	v_lshl_add_u64 v[18:19], v[20:21], 3, v[10:11]
	flat_load_b64 v[18:19], v[18:19]
.LBB59_16:                              ;   in Loop: Header=BB59_10 Depth=3
	s_wait_xcnt 0x0
	s_and_not1_saveexec_b32 s41, s41
	s_cbranch_execz .LBB59_18
; %bb.17:                               ;   in Loop: Header=BB59_10 Depth=3
	s_wait_loadcnt_dscnt 0x0
	flat_load_b32 v18, v[14:15]
	v_mov_b32_e32 v19, 0
.LBB59_18:                              ;   in Loop: Header=BB59_10 Depth=3
	s_wait_xcnt 0x0
	s_or_b32 exec_lo, exec_lo, s41
                                        ; implicit-def: $vgpr20
.LBB59_19:                              ;   in Loop: Header=BB59_10 Depth=3
	s_and_not1_saveexec_b32 s0, s0
	s_cbranch_execz .LBB59_21
; %bb.20:                               ;   in Loop: Header=BB59_10 Depth=3
	v_ashrrev_i32_e32 v21, 31, v20
	s_wait_loadcnt_dscnt 0x0
	s_delay_alu instid0(VALU_DEP_1) | instskip(NEXT) | instid1(VALU_DEP_1)
	v_mul_u64_e32 v[18:19], s[22:23], v[20:21]
	v_lshl_add_u64 v[18:19], v[18:19], 3, v[12:13]
	flat_load_b64 v[18:19], v[18:19]
	s_wait_loadcnt_dscnt 0x0
	v_xor_b32_e32 v19, 0x80000000, v19
.LBB59_21:                              ;   in Loop: Header=BB59_10 Depth=3
	s_or_b32 exec_lo, exec_lo, s0
.LBB59_22:                              ;   in Loop: Header=BB59_10 Depth=3
	s_delay_alu instid0(SALU_CYCLE_1)
	s_or_b32 exec_lo, exec_lo, s40
	s_wait_loadcnt_dscnt 0x0
	ds_store_b64 v29, v[18:19]
	s_wait_dscnt 0x0
	s_barrier_signal -1
	s_barrier_wait -1
	s_and_saveexec_b32 s0, s38
	s_cbranch_execz .LBB59_9
; %bb.23:                               ;   in Loop: Header=BB59_10 Depth=3
	flat_load_b64 v[18:19], v[16:17]
	ds_load_2addr_b64 v[20:23], v27 offset1:32
	ds_load_b128 v[36:39], v26
	ds_load_b128 v[40:43], v26 offset:16
	ds_load_2addr_b64 v[44:47], v27 offset0:64 offset1:96
	ds_load_b128 v[48:51], v26 offset:32
	ds_load_2addr_b64 v[52:55], v27 offset0:128 offset1:160
	s_wait_dscnt 0x4
	v_dual_mul_f32 v35, v21, v37 :: v_dual_mul_f32 v37, v20, v37
	s_wait_dscnt 0x2
	v_dual_mul_f32 v56, v45, v41 :: v_dual_mul_f32 v41, v44, v41
	s_delay_alu instid0(VALU_DEP_2) | instskip(SKIP_1) | instid1(VALU_DEP_3)
	v_dual_fma_f32 v20, v20, v36, -v35 :: v_dual_fmac_f32 v37, v21, v36
	v_dual_mul_f32 v21, v23, v39 :: v_dual_mul_f32 v35, v22, v39
	v_fmac_f32_e32 v41, v45, v40
	s_delay_alu instid0(VALU_DEP_3) | instskip(NEXT) | instid1(VALU_DEP_3)
	v_dual_add_f32 v36, 0, v20 :: v_dual_add_f32 v37, 0, v37
	v_dual_fma_f32 v39, v22, v38, -v21 :: v_dual_fmac_f32 v35, v23, v38
	v_fma_f32 v38, v44, v40, -v56
	ds_load_b128 v[20:23], v26 offset:48
	v_dual_mul_f32 v40, v47, v43 :: v_dual_mul_f32 v43, v46, v43
	v_add_f32_e32 v36, v36, v39
	s_delay_alu instid0(VALU_DEP_2) | instskip(NEXT) | instid1(VALU_DEP_3)
	v_dual_add_f32 v35, v37, v35 :: v_dual_fma_f32 v40, v46, v42, -v40
	v_fmac_f32_e32 v43, v47, v42
	s_delay_alu instid0(VALU_DEP_2) | instskip(SKIP_4) | instid1(VALU_DEP_2)
	v_dual_add_f32 v44, v36, v38 :: v_dual_add_f32 v35, v35, v41
	ds_load_2addr_b64 v[36:39], v27 offset0:192 offset1:224
	s_wait_dscnt 0x2
	v_dual_mul_f32 v41, v53, v49 :: v_dual_mul_f32 v49, v52, v49
	v_dual_add_f32 v56, v44, v40 :: v_dual_add_f32 v35, v35, v43
	v_fma_f32 v52, v52, v48, -v41
	ds_load_b128 v[40:43], v26 offset:64
	ds_load_2addr_b64 v[44:47], v31 offset1:32
	v_dual_fmac_f32 v49, v53, v48 :: v_dual_mul_f32 v48, v55, v51
	v_dual_mul_f32 v51, v54, v51 :: v_dual_add_f32 v52, v56, v52
	s_delay_alu instid0(VALU_DEP_2) | instskip(NEXT) | instid1(VALU_DEP_1)
	v_dual_add_f32 v35, v35, v49 :: v_dual_fma_f32 v48, v54, v50, -v48
	v_dual_fmac_f32 v51, v55, v50 :: v_dual_add_f32 v56, v52, v48
	s_wait_dscnt 0x2
	s_delay_alu instid0(VALU_DEP_1) | instskip(NEXT) | instid1(VALU_DEP_1)
	v_dual_add_f32 v35, v35, v51 :: v_dual_mul_f32 v49, v37, v21
	v_dual_mul_f32 v21, v36, v21 :: v_dual_fma_f32 v36, v36, v20, -v49
	s_delay_alu instid0(VALU_DEP_1)
	v_dual_fmac_f32 v21, v37, v20 :: v_dual_mul_f32 v20, v39, v23
	ds_load_b128 v[48:51], v26 offset:80
	ds_load_2addr_b64 v[52:55], v31 offset0:64 offset1:96
	v_dual_mul_f32 v23, v38, v23 :: v_dual_add_f32 v36, v56, v36
	s_wait_dscnt 0x2
	v_dual_mul_f32 v37, v45, v41 :: v_dual_fma_f32 v20, v38, v22, -v20
	v_add_f32_e32 v21, v35, v21
	s_delay_alu instid0(VALU_DEP_3) | instskip(NEXT) | instid1(VALU_DEP_3)
	v_dual_fmac_f32 v23, v39, v22 :: v_dual_mul_f32 v35, v44, v41
	v_fma_f32 v22, v44, v40, -v37
	s_delay_alu instid0(VALU_DEP_2) | instskip(NEXT) | instid1(VALU_DEP_3)
	v_dual_add_f32 v20, v36, v20 :: v_dual_add_f32 v41, v21, v23
	v_dual_fmac_f32 v35, v45, v40 :: v_dual_mul_f32 v40, v47, v43
	s_delay_alu instid0(VALU_DEP_2)
	v_add_f32_e32 v44, v20, v22
	ds_load_b128 v[20:23], v26 offset:96
	ds_load_2addr_b64 v[36:39], v31 offset0:128 offset1:160
	v_dual_mul_f32 v43, v46, v43 :: v_dual_fma_f32 v40, v46, v42, -v40
	v_add_f32_e32 v35, v41, v35
	s_wait_dscnt 0x2
	s_delay_alu instid0(VALU_DEP_2) | instskip(SKIP_2) | instid1(VALU_DEP_3)
	v_dual_mul_f32 v45, v53, v49 :: v_dual_fmac_f32 v43, v47, v42
	v_mul_f32_e32 v49, v52, v49
	v_add_f32_e32 v40, v44, v40
	v_dual_fma_f32 v41, v52, v48, -v45 :: v_dual_mul_f32 v42, v55, v51
	s_delay_alu instid0(VALU_DEP_3) | instskip(NEXT) | instid1(VALU_DEP_2)
	v_dual_fmac_f32 v49, v53, v48 :: v_dual_add_f32 v35, v35, v43
	v_dual_mul_f32 v51, v54, v51 :: v_dual_add_f32 v48, v40, v41
	s_delay_alu instid0(VALU_DEP_3)
	v_fma_f32 v52, v54, v50, -v42
	ds_load_b128 v[40:43], v26 offset:112
	ds_load_2addr_b64 v[44:47], v31 offset0:192 offset1:224
	v_add_f32_e32 v35, v35, v49
	s_wait_dscnt 0x2
	v_dual_fmac_f32 v51, v55, v50 :: v_dual_mul_f32 v53, v37, v21
	v_add_f32_e32 v48, v48, v52
	s_delay_alu instid0(VALU_DEP_2) | instskip(NEXT) | instid1(VALU_DEP_1)
	v_dual_mul_f32 v21, v36, v21 :: v_dual_fma_f32 v36, v36, v20, -v53
	v_dual_add_f32 v35, v35, v51 :: v_dual_fmac_f32 v21, v37, v20
	s_delay_alu instid0(VALU_DEP_2) | instskip(SKIP_3) | instid1(VALU_DEP_1)
	v_dual_add_f32 v20, v48, v36 :: v_dual_mul_f32 v36, v39, v23
	ds_load_b128 v[48:51], v26 offset:128
	ds_load_2addr_b64 v[52:55], v32 offset1:32
	v_dual_mul_f32 v23, v38, v23 :: v_dual_add_f32 v21, v35, v21
	v_dual_fma_f32 v35, v38, v22, -v36 :: v_dual_fmac_f32 v23, v39, v22
	s_wait_dscnt 0x2
	v_dual_mul_f32 v22, v45, v41 :: v_dual_mul_f32 v41, v44, v41
	s_delay_alu instid0(VALU_DEP_2) | instskip(NEXT) | instid1(VALU_DEP_2)
	v_add_f32_e32 v35, v20, v35
	v_dual_add_f32 v56, v21, v23 :: v_dual_fma_f32 v44, v44, v40, -v22
	s_delay_alu instid0(VALU_DEP_3)
	v_dual_fmac_f32 v41, v45, v40 :: v_dual_mul_f32 v40, v47, v43
	v_mul_f32_e32 v43, v46, v43
	ds_load_b128 v[20:23], v26 offset:144
	ds_load_2addr_b64 v[36:39], v32 offset0:64 offset1:96
	v_dual_add_f32 v35, v35, v44 :: v_dual_add_f32 v41, v56, v41
	v_dual_fma_f32 v40, v46, v42, -v40 :: v_dual_fmac_f32 v43, v47, v42
	s_wait_dscnt 0x2
	v_dual_mul_f32 v42, v53, v49 :: v_dual_mul_f32 v49, v52, v49
	s_delay_alu instid0(VALU_DEP_2) | instskip(NEXT) | instid1(VALU_DEP_2)
	v_dual_add_f32 v35, v35, v40 :: v_dual_add_f32 v56, v41, v43
	v_dual_fma_f32 v52, v52, v48, -v42 :: v_dual_fmac_f32 v49, v53, v48
	ds_load_b128 v[40:43], v26 offset:160
	ds_load_2addr_b64 v[44:47], v32 offset0:128 offset1:160
	v_dual_mul_f32 v48, v55, v51 :: v_dual_mul_f32 v51, v54, v51
	s_delay_alu instid0(VALU_DEP_1) | instskip(SKIP_2) | instid1(VALU_DEP_3)
	v_dual_add_f32 v35, v35, v52 :: v_dual_fma_f32 v48, v54, v50, -v48
	v_add_f32_e32 v49, v56, v49
	s_wait_dscnt 0x2
	v_dual_mul_f32 v52, v37, v21 :: v_dual_fmac_f32 v51, v55, v50
	s_delay_alu instid0(VALU_DEP_3) | instskip(NEXT) | instid1(VALU_DEP_2)
	v_dual_mul_f32 v21, v36, v21 :: v_dual_add_f32 v35, v35, v48
	v_dual_fma_f32 v36, v36, v20, -v52 :: v_dual_add_f32 v56, v49, v51
	s_delay_alu instid0(VALU_DEP_2)
	v_dual_fmac_f32 v21, v37, v20 :: v_dual_mul_f32 v20, v39, v23
	ds_load_b128 v[48:51], v26 offset:176
	ds_load_2addr_b64 v[52:55], v32 offset0:192 offset1:224
	v_dual_add_f32 v35, v35, v36 :: v_dual_mul_f32 v23, v38, v23
	s_wait_dscnt 0x2
	v_dual_fma_f32 v20, v38, v22, -v20 :: v_dual_mul_f32 v36, v45, v41
	s_delay_alu instid0(VALU_DEP_2) | instskip(NEXT) | instid1(VALU_DEP_2)
	v_dual_add_f32 v21, v56, v21 :: v_dual_fmac_f32 v23, v39, v22
	v_dual_add_f32 v20, v35, v20 :: v_dual_mul_f32 v35, v44, v41
	s_delay_alu instid0(VALU_DEP_3) | instskip(NEXT) | instid1(VALU_DEP_3)
	v_dual_fma_f32 v22, v44, v40, -v36 :: v_dual_mul_f32 v36, v47, v43
	v_add_f32_e32 v41, v21, v23
	s_delay_alu instid0(VALU_DEP_3) | instskip(NEXT) | instid1(VALU_DEP_3)
	v_dual_mul_f32 v43, v46, v43 :: v_dual_fmac_f32 v35, v45, v40
	v_add_f32_e32 v40, v20, v22
	s_delay_alu instid0(VALU_DEP_4)
	v_fma_f32 v44, v46, v42, -v36
	ds_load_b128 v[20:23], v26 offset:192
	ds_load_2addr_b64 v[36:39], v33 offset1:32
	s_wait_dscnt 0x2
	v_dual_fmac_f32 v43, v47, v42 :: v_dual_mul_f32 v45, v53, v49
	v_dual_add_f32 v35, v41, v35 :: v_dual_add_f32 v40, v40, v44
	s_delay_alu instid0(VALU_DEP_2) | instskip(NEXT) | instid1(VALU_DEP_2)
	v_dual_mul_f32 v49, v52, v49 :: v_dual_fma_f32 v41, v52, v48, -v45
	v_add_f32_e32 v35, v35, v43
	s_delay_alu instid0(VALU_DEP_2) | instskip(NEXT) | instid1(VALU_DEP_3)
	v_dual_mul_f32 v52, v55, v51 :: v_dual_fmac_f32 v49, v53, v48
	v_dual_mul_f32 v51, v54, v51 :: v_dual_add_f32 v48, v40, v41
	ds_load_b128 v[40:43], v26 offset:208
	ds_load_2addr_b64 v[44:47], v33 offset0:64 offset1:96
	v_dual_add_f32 v35, v35, v49 :: v_dual_fma_f32 v49, v54, v50, -v52
	s_wait_dscnt 0x2
	v_dual_fmac_f32 v51, v55, v50 :: v_dual_mul_f32 v50, v37, v21
	v_mul_f32_e32 v21, v36, v21
	s_delay_alu instid0(VALU_DEP_2) | instskip(NEXT) | instid1(VALU_DEP_2)
	v_dual_add_f32 v56, v48, v49 :: v_dual_add_f32 v35, v35, v51
	v_dual_fma_f32 v36, v36, v20, -v50 :: v_dual_fmac_f32 v21, v37, v20
	v_dual_mul_f32 v20, v39, v23 :: v_dual_mul_f32 v23, v38, v23
	ds_load_b128 v[48:51], v26 offset:224
	ds_load_2addr_b64 v[52:55], v33 offset0:128 offset1:160
	v_dual_add_f32 v36, v56, v36 :: v_dual_add_f32 v21, v35, v21
	v_dual_fma_f32 v20, v38, v22, -v20 :: v_dual_fmac_f32 v23, v39, v22
	s_wait_dscnt 0x2
	v_dual_mul_f32 v35, v44, v41 :: v_dual_mul_f32 v41, v45, v41
	s_delay_alu instid0(VALU_DEP_2) | instskip(SKIP_4) | instid1(VALU_DEP_2)
	v_dual_add_f32 v56, v36, v20 :: v_dual_add_f32 v57, v21, v23
	ds_load_b128 v[20:23], v26 offset:240
	ds_load_2addr_b64 v[36:39], v33 offset0:192 offset1:224
	v_dual_fmac_f32 v35, v45, v40 :: v_dual_mul_f32 v45, v46, v43
	v_dual_fma_f32 v40, v44, v40, -v41 :: v_dual_mul_f32 v41, v47, v43
	v_dual_add_f32 v35, v57, v35 :: v_dual_fmac_f32 v45, v47, v42
	s_delay_alu instid0(VALU_DEP_2) | instskip(SKIP_2) | instid1(VALU_DEP_3)
	v_dual_add_f32 v40, v56, v40 :: v_dual_fma_f32 v41, v46, v42, -v41
	s_wait_dscnt 0x2
	v_dual_mul_f32 v43, v52, v49 :: v_dual_mul_f32 v42, v53, v49
	v_dual_add_f32 v35, v35, v45 :: v_dual_mul_f32 v44, v54, v51
	s_delay_alu instid0(VALU_DEP_2) | instskip(NEXT) | instid1(VALU_DEP_3)
	v_dual_add_f32 v40, v40, v41 :: v_dual_fmac_f32 v43, v53, v48
	v_dual_fma_f32 v41, v52, v48, -v42 :: v_dual_mul_f32 v42, v55, v51
	s_delay_alu instid0(VALU_DEP_3) | instskip(SKIP_1) | instid1(VALU_DEP_3)
	v_fmac_f32_e32 v44, v55, v50
	s_wait_dscnt 0x0
	v_dual_add_f32 v35, v35, v43 :: v_dual_mul_f32 v43, v36, v21
	s_delay_alu instid0(VALU_DEP_3) | instskip(NEXT) | instid1(VALU_DEP_2)
	v_dual_add_f32 v40, v40, v41 :: v_dual_fma_f32 v41, v54, v50, -v42
	v_dual_mul_f32 v21, v37, v21 :: v_dual_add_f32 v35, v35, v44
	s_delay_alu instid0(VALU_DEP_3) | instskip(NEXT) | instid1(VALU_DEP_3)
	v_dual_fmac_f32 v43, v37, v20 :: v_dual_mul_f32 v37, v38, v23
	v_add_f32_e32 v40, v40, v41
	s_delay_alu instid0(VALU_DEP_3) | instskip(NEXT) | instid1(VALU_DEP_3)
	v_dual_fma_f32 v20, v36, v20, -v21 :: v_dual_mul_f32 v23, v39, v23
	v_add_f32_e32 v21, v35, v43
	s_delay_alu instid0(VALU_DEP_2) | instskip(NEXT) | instid1(VALU_DEP_3)
	v_dual_fmac_f32 v37, v39, v22 :: v_dual_add_f32 v35, v40, v20
	v_fma_f32 v36, v38, v22, -v23
	v_mov_b64_e32 v[22:23], s[28:29]
	s_delay_alu instid0(VALU_DEP_2) | instskip(NEXT) | instid1(VALU_DEP_1)
	v_dual_add_f32 v20, v21, v37 :: v_dual_add_f32 v36, v35, v36
	v_pk_mul_f32 v[20:21], v[22:23], v[20:21] op_sel_hi:[1,0]
	v_mov_b64_e32 v[22:23], s[20:21]
	s_delay_alu instid0(VALU_DEP_1) | instskip(SKIP_1) | instid1(VALU_DEP_2)
	v_pk_fma_f32 v[38:39], v[22:23], v[36:37], v[20:21] op_sel_hi:[1,0,1]
	v_pk_fma_f32 v[20:21], v[22:23], v[36:37], v[20:21] neg_lo:[0,0,1] neg_hi:[0,0,1]
	v_mov_b32_e32 v21, v39
	s_wait_loadcnt 0x0
	s_delay_alu instid0(VALU_DEP_1)
	v_pk_add_f32 v[18:19], v[18:19], v[20:21]
	flat_store_b64 v[16:17], v[18:19]
	s_branch .LBB59_9
.LBB59_24:
	s_endpgm
	.section	.rodata,"a",@progbits
	.p2align	6, 0x0
	.amdhsa_kernel _ZL24rocblas_symm_hemm_kernelILb1ELb1ELi32E19rocblas_complex_numIfEPKPKS1_PKPS1_EvbiiT2_T3_lllSA_lllT4_llli
		.amdhsa_group_segment_fixed_size 16384
		.amdhsa_private_segment_fixed_size 0
		.amdhsa_kernarg_size 384
		.amdhsa_user_sgpr_count 2
		.amdhsa_user_sgpr_dispatch_ptr 0
		.amdhsa_user_sgpr_queue_ptr 0
		.amdhsa_user_sgpr_kernarg_segment_ptr 1
		.amdhsa_user_sgpr_dispatch_id 0
		.amdhsa_user_sgpr_kernarg_preload_length 0
		.amdhsa_user_sgpr_kernarg_preload_offset 0
		.amdhsa_user_sgpr_private_segment_size 0
		.amdhsa_wavefront_size32 1
		.amdhsa_uses_dynamic_stack 0
		.amdhsa_enable_private_segment 0
		.amdhsa_system_sgpr_workgroup_id_x 1
		.amdhsa_system_sgpr_workgroup_id_y 1
		.amdhsa_system_sgpr_workgroup_id_z 1
		.amdhsa_system_sgpr_workgroup_info 0
		.amdhsa_system_vgpr_workitem_id 1
		.amdhsa_next_free_vgpr 58
		.amdhsa_next_free_sgpr 42
		.amdhsa_named_barrier_count 0
		.amdhsa_reserve_vcc 1
		.amdhsa_float_round_mode_32 0
		.amdhsa_float_round_mode_16_64 0
		.amdhsa_float_denorm_mode_32 3
		.amdhsa_float_denorm_mode_16_64 3
		.amdhsa_fp16_overflow 0
		.amdhsa_memory_ordered 1
		.amdhsa_forward_progress 1
		.amdhsa_inst_pref_size 21
		.amdhsa_round_robin_scheduling 0
		.amdhsa_exception_fp_ieee_invalid_op 0
		.amdhsa_exception_fp_denorm_src 0
		.amdhsa_exception_fp_ieee_div_zero 0
		.amdhsa_exception_fp_ieee_overflow 0
		.amdhsa_exception_fp_ieee_underflow 0
		.amdhsa_exception_fp_ieee_inexact 0
		.amdhsa_exception_int_div_zero 0
	.end_amdhsa_kernel
	.section	.text._ZL24rocblas_symm_hemm_kernelILb1ELb1ELi32E19rocblas_complex_numIfEPKPKS1_PKPS1_EvbiiT2_T3_lllSA_lllT4_llli,"axG",@progbits,_ZL24rocblas_symm_hemm_kernelILb1ELb1ELi32E19rocblas_complex_numIfEPKPKS1_PKPS1_EvbiiT2_T3_lllSA_lllT4_llli,comdat
.Lfunc_end59:
	.size	_ZL24rocblas_symm_hemm_kernelILb1ELb1ELi32E19rocblas_complex_numIfEPKPKS1_PKPS1_EvbiiT2_T3_lllSA_lllT4_llli, .Lfunc_end59-_ZL24rocblas_symm_hemm_kernelILb1ELb1ELi32E19rocblas_complex_numIfEPKPKS1_PKPS1_EvbiiT2_T3_lllSA_lllT4_llli
                                        ; -- End function
	.set _ZL24rocblas_symm_hemm_kernelILb1ELb1ELi32E19rocblas_complex_numIfEPKPKS1_PKPS1_EvbiiT2_T3_lllSA_lllT4_llli.num_vgpr, 58
	.set _ZL24rocblas_symm_hemm_kernelILb1ELb1ELi32E19rocblas_complex_numIfEPKPKS1_PKPS1_EvbiiT2_T3_lllSA_lllT4_llli.num_agpr, 0
	.set _ZL24rocblas_symm_hemm_kernelILb1ELb1ELi32E19rocblas_complex_numIfEPKPKS1_PKPS1_EvbiiT2_T3_lllSA_lllT4_llli.numbered_sgpr, 42
	.set _ZL24rocblas_symm_hemm_kernelILb1ELb1ELi32E19rocblas_complex_numIfEPKPKS1_PKPS1_EvbiiT2_T3_lllSA_lllT4_llli.num_named_barrier, 0
	.set _ZL24rocblas_symm_hemm_kernelILb1ELb1ELi32E19rocblas_complex_numIfEPKPKS1_PKPS1_EvbiiT2_T3_lllSA_lllT4_llli.private_seg_size, 0
	.set _ZL24rocblas_symm_hemm_kernelILb1ELb1ELi32E19rocblas_complex_numIfEPKPKS1_PKPS1_EvbiiT2_T3_lllSA_lllT4_llli.uses_vcc, 1
	.set _ZL24rocblas_symm_hemm_kernelILb1ELb1ELi32E19rocblas_complex_numIfEPKPKS1_PKPS1_EvbiiT2_T3_lllSA_lllT4_llli.uses_flat_scratch, 0
	.set _ZL24rocblas_symm_hemm_kernelILb1ELb1ELi32E19rocblas_complex_numIfEPKPKS1_PKPS1_EvbiiT2_T3_lllSA_lllT4_llli.has_dyn_sized_stack, 0
	.set _ZL24rocblas_symm_hemm_kernelILb1ELb1ELi32E19rocblas_complex_numIfEPKPKS1_PKPS1_EvbiiT2_T3_lllSA_lllT4_llli.has_recursion, 0
	.set _ZL24rocblas_symm_hemm_kernelILb1ELb1ELi32E19rocblas_complex_numIfEPKPKS1_PKPS1_EvbiiT2_T3_lllSA_lllT4_llli.has_indirect_call, 0
	.section	.AMDGPU.csdata,"",@progbits
; Kernel info:
; codeLenInByte = 2644
; TotalNumSgprs: 44
; NumVgprs: 58
; ScratchSize: 0
; MemoryBound: 0
; FloatMode: 240
; IeeeMode: 1
; LDSByteSize: 16384 bytes/workgroup (compile time only)
; SGPRBlocks: 0
; VGPRBlocks: 3
; NumSGPRsForWavesPerEU: 44
; NumVGPRsForWavesPerEU: 58
; NamedBarCnt: 0
; Occupancy: 16
; WaveLimiterHint : 1
; COMPUTE_PGM_RSRC2:SCRATCH_EN: 0
; COMPUTE_PGM_RSRC2:USER_SGPR: 2
; COMPUTE_PGM_RSRC2:TRAP_HANDLER: 0
; COMPUTE_PGM_RSRC2:TGID_X_EN: 1
; COMPUTE_PGM_RSRC2:TGID_Y_EN: 1
; COMPUTE_PGM_RSRC2:TGID_Z_EN: 1
; COMPUTE_PGM_RSRC2:TIDIG_COMP_CNT: 1
	.section	.text._ZL24rocblas_symm_hemm_kernelILb1ELb0ELi32EPK19rocblas_complex_numIdEPKS3_PKPS1_EvbiiT2_T3_lllSA_lllT4_llli,"axG",@progbits,_ZL24rocblas_symm_hemm_kernelILb1ELb0ELi32EPK19rocblas_complex_numIdEPKS3_PKPS1_EvbiiT2_T3_lllSA_lllT4_llli,comdat
	.globl	_ZL24rocblas_symm_hemm_kernelILb1ELb0ELi32EPK19rocblas_complex_numIdEPKS3_PKPS1_EvbiiT2_T3_lllSA_lllT4_llli ; -- Begin function _ZL24rocblas_symm_hemm_kernelILb1ELb0ELi32EPK19rocblas_complex_numIdEPKS3_PKPS1_EvbiiT2_T3_lllSA_lllT4_llli
	.p2align	8
	.type	_ZL24rocblas_symm_hemm_kernelILb1ELb0ELi32EPK19rocblas_complex_numIdEPKS3_PKPS1_EvbiiT2_T3_lllSA_lllT4_llli,@function
_ZL24rocblas_symm_hemm_kernelILb1ELb0ELi32EPK19rocblas_complex_numIdEPKS3_PKPS1_EvbiiT2_T3_lllSA_lllT4_llli: ; @_ZL24rocblas_symm_hemm_kernelILb1ELb0ELi32EPK19rocblas_complex_numIdEPKS3_PKPS1_EvbiiT2_T3_lllSA_lllT4_llli
; %bb.0:
	s_load_b256 s[4:11], s[0:1], 0x10
	s_wait_kmcnt 0x0
	s_load_b128 s[12:15], s[4:5], 0x0
	s_wait_kmcnt 0x0
	v_cmp_eq_f64_e64 s2, s[12:13], 0
	v_cmp_eq_f64_e64 s3, s[14:15], 0
	s_and_b32 s2, s2, s3
	s_delay_alu instid0(SALU_CYCLE_1)
	s_and_b32 vcc_lo, exec_lo, s2
	s_cbranch_vccnz .LBB60_26
; %bb.1:
	s_load_b32 s27, s[0:1], 0x78
	s_bfe_u32 s2, ttmp6, 0x40014
	s_lshr_b32 s4, ttmp7, 16
	s_add_co_i32 s2, s2, 1
	s_bfe_u32 s5, ttmp6, 0x40008
	s_mul_i32 s2, s4, s2
	s_getreg_b32 s3, hwreg(HW_REG_IB_STS2, 6, 4)
	s_add_co_i32 s5, s5, s2
	s_cmp_eq_u32 s3, 0
	s_cselect_b32 s33, s4, s5
	s_wait_kmcnt 0x0
	s_cmp_ge_u32 s33, s27
	s_cbranch_scc1 .LBB60_26
; %bb.2:
	s_clause 0x1
	s_load_b96 s[24:26], s[0:1], 0x0
	s_load_b128 s[16:19], s[0:1], 0x38
	v_and_b32_e32 v28, 0x3ff, v0
	v_bfe_u32 v29, v0, 10, 10
	s_load_b64 s[28:29], s[0:1], 0x68
	s_delay_alu instid0(VALU_DEP_1) | instskip(NEXT) | instid1(VALU_DEP_1)
	v_dual_lshlrev_b32 v30, 9, v28 :: v_dual_lshlrev_b32 v0, 4, v29
	v_or_b32_e32 v31, 0x4000, v0
	s_delay_alu instid0(VALU_DEP_2)
	v_add_nc_u32_e32 v32, v30, v0
	s_wait_kmcnt 0x0
	s_bitcmp1_b32 s24, 0
	s_cselect_b32 s2, -1, 0
	s_add_co_i32 s4, s26, -1
	s_bfe_u32 s20, ttmp6, 0x4000c
	s_bfe_u32 s21, ttmp6, 0x40010
	s_ashr_i32 s23, s4, 31
	s_and_b32 s30, ttmp7, 0xffff
	s_add_co_i32 s20, s20, 1
	s_add_co_i32 s21, s21, 1
	s_lshr_b32 s23, s23, 27
	s_and_b32 s5, ttmp6, 15
	s_bfe_u32 s22, ttmp6, 0x40004
	s_mul_i32 s20, ttmp9, s20
	s_mul_i32 s21, s30, s21
	s_add_co_i32 s4, s4, s23
	s_add_co_i32 s5, s5, s20
	;; [unrolled: 1-line block ×3, first 2 shown]
	s_ashr_i32 s24, s4, 5
	s_cmp_eq_u32 s3, 0
	s_cselect_b32 s3, ttmp9, s5
	s_clause 0x1
	s_load_b128 s[20:23], s[0:1], 0x58
	s_load_b64 s[4:5], s[0:1], 0x48
	v_lshl_add_u32 v8, s3, 5, v28
	s_cselect_b32 s36, s30, s31
	s_add_nc_u64 s[30:31], s[0:1], 0x80
	s_cmp_le_i32 s36, s24
	s_delay_alu instid0(VALU_DEP_1)
	v_ashrrev_i32_e32 v9, 31, v8
	v_cmp_gt_i32_e64 s3, s25, v8
	s_cselect_b32 s37, -1, 0
	s_cmp_gt_i32 s25, 0
	v_mul_u64_e32 v[2:3], s[10:11], v[8:9]
	v_lshlrev_b64_e32 v[10:11], 4, v[8:9]
	s_cselect_b32 s38, -1, 0
	s_lshl_b64 s[18:19], s[18:19], 4
	s_lshl_b64 s[8:9], s[8:9], 4
	s_wait_kmcnt 0x0
	s_lshl_b64 s[22:23], s[22:23], 4
	s_delay_alu instid0(VALU_DEP_2)
	v_lshlrev_b64_e32 v[12:13], 4, v[2:3]
	s_branch .LBB60_4
.LBB60_3:                               ;   in Loop: Header=BB60_4 Depth=1
	s_add_co_i32 s33, s33, 0x10000
	s_delay_alu instid0(SALU_CYCLE_1)
	s_cmp_lt_u32 s33, s27
	s_cbranch_scc0 .LBB60_26
.LBB60_4:                               ; =>This Loop Header: Depth=1
                                        ;     Child Loop BB60_7 Depth 2
                                        ;       Child Loop BB60_10 Depth 3
                                        ;         Child Loop BB60_24 Depth 4
	s_and_not1_b32 vcc_lo, exec_lo, s37
	s_cbranch_vccnz .LBB60_3
; %bb.5:                                ;   in Loop: Header=BB60_4 Depth=1
	s_load_b64 s[0:1], s[6:7], s33 offset:0x0 scale_offset
	s_load_b64 s[34:35], s[20:21], s33 offset:0x0 scale_offset
	s_load_b64 s[40:41], s[16:17], s33 offset:0x0 scale_offset
	s_load_b32 s39, s[30:31], 0x4
	s_wait_kmcnt 0x0
	s_add_nc_u64 s[0:1], s[0:1], s[8:9]
	s_add_nc_u64 s[34:35], s[34:35], s[22:23]
	v_add_nc_u64_e32 v[14:15], s[0:1], v[10:11]
	v_add_nc_u64_e32 v[16:17], s[0:1], v[12:13]
	;; [unrolled: 1-line block ×3, first 2 shown]
	s_add_nc_u64 s[34:35], s[40:41], s[18:19]
	s_mov_b32 s40, s36
	s_delay_alu instid0(VALU_DEP_3)
	v_add_nc_u64_e32 v[20:21], v[14:15], v[12:13]
	s_branch .LBB60_7
.LBB60_6:                               ;   in Loop: Header=BB60_7 Depth=2
	s_add_co_i32 s40, s40, s39
	s_delay_alu instid0(SALU_CYCLE_1)
	s_cmp_gt_i32 s40, s24
	s_cbranch_scc1 .LBB60_3
.LBB60_7:                               ;   Parent Loop BB60_4 Depth=1
                                        ; =>  This Loop Header: Depth=2
                                        ;       Child Loop BB60_10 Depth 3
                                        ;         Child Loop BB60_24 Depth 4
	s_and_not1_b32 vcc_lo, exec_lo, s38
	s_cbranch_vccnz .LBB60_6
; %bb.8:                                ;   in Loop: Header=BB60_7 Depth=2
	v_lshl_add_u32 v0, s40, 5, v29
	s_mov_b32 s42, 0
	s_delay_alu instid0(VALU_DEP_1) | instskip(SKIP_1) | instid1(VALU_DEP_2)
	v_ashrrev_i32_e32 v1, 31, v0
	v_cmp_gt_i32_e32 vcc_lo, s26, v0
	v_mul_u64_e32 v[2:3], s[4:5], v[0:1]
	v_mul_u64_e32 v[4:5], s[28:29], v[0:1]
	s_and_b32 s41, s3, vcc_lo
	s_delay_alu instid0(VALU_DEP_2) | instskip(NEXT) | instid1(VALU_DEP_2)
	v_lshl_add_u64 v[22:23], v[2:3], 4, s[34:35]
	v_lshl_add_u64 v[24:25], v[4:5], 4, v[18:19]
	s_branch .LBB60_10
.LBB60_9:                               ;   in Loop: Header=BB60_10 Depth=3
	s_wait_xcnt 0x0
	s_or_b32 exec_lo, exec_lo, s0
	s_add_co_i32 s42, s42, 32
	s_wait_storecnt_dscnt 0x0
	s_cmp_ge_i32 s42, s25
	s_barrier_signal -1
	s_barrier_wait -1
	s_cbranch_scc1 .LBB60_6
.LBB60_10:                              ;   Parent Loop BB60_4 Depth=1
                                        ;     Parent Loop BB60_7 Depth=2
                                        ; =>    This Loop Header: Depth=3
                                        ;         Child Loop BB60_24 Depth 4
	v_add_nc_u32_e32 v2, s42, v29
	v_mov_b64_e32 v[4:5], 0
	v_mov_b64_e32 v[6:7], 0
	s_mov_b32 s43, exec_lo
	s_delay_alu instid0(VALU_DEP_3) | instskip(NEXT) | instid1(VALU_DEP_1)
	v_dual_cndmask_b32 v3, v2, v8, s2 :: v_dual_cndmask_b32 v9, v8, v2, s2
	v_cmp_gt_i32_e64 s0, v3, v9
	s_delay_alu instid0(VALU_DEP_1) | instskip(SKIP_1) | instid1(VALU_DEP_2)
	v_dual_cndmask_b32 v0, v8, v2, s0 :: v_dual_cndmask_b32 v1, v2, v8, s0
	v_cmp_le_i32_e64 s0, v3, v9
	v_max_i32_e32 v26, v0, v1
	v_mov_b64_e32 v[0:1], 0
	s_delay_alu instid0(VALU_DEP_2)
	v_cmpx_gt_i32_e64 s25, v26
	s_cbranch_execz .LBB60_20
; %bb.11:                               ;   in Loop: Header=BB60_10 Depth=3
                                        ; implicit-def: $vgpr6_vgpr7
	s_and_saveexec_b32 s1, s0
	s_delay_alu instid0(SALU_CYCLE_1)
	s_xor_b32 s1, exec_lo, s1
	s_cbranch_execz .LBB60_17
; %bb.12:                               ;   in Loop: Header=BB60_10 Depth=3
	v_cmp_ne_u32_e64 s0, v8, v2
                                        ; implicit-def: $vgpr6_vgpr7
	s_and_saveexec_b32 s44, s0
	s_delay_alu instid0(SALU_CYCLE_1)
	s_xor_b32 s0, exec_lo, s44
	s_cbranch_execz .LBB60_14
; %bb.13:                               ;   in Loop: Header=BB60_10 Depth=3
	v_ashrrev_i32_e32 v3, 31, v2
	s_delay_alu instid0(VALU_DEP_1) | instskip(NEXT) | instid1(VALU_DEP_1)
	v_mul_u64_e32 v[2:3], s[10:11], v[2:3]
	v_lshl_add_u64 v[2:3], v[2:3], 4, v[14:15]
	flat_load_b128 v[4:7], v[2:3]
.LBB60_14:                              ;   in Loop: Header=BB60_10 Depth=3
	s_wait_xcnt 0x0
	s_and_not1_saveexec_b32 s0, s0
	s_cbranch_execz .LBB60_16
; %bb.15:                               ;   in Loop: Header=BB60_10 Depth=3
	s_wait_loadcnt_dscnt 0x0
	flat_load_b64 v[4:5], v[20:21]
	v_mov_b64_e32 v[6:7], 0
.LBB60_16:                              ;   in Loop: Header=BB60_10 Depth=3
	s_wait_xcnt 0x0
	s_or_b32 exec_lo, exec_lo, s0
                                        ; implicit-def: $vgpr2
.LBB60_17:                              ;   in Loop: Header=BB60_10 Depth=3
	s_and_not1_saveexec_b32 s0, s1
	s_cbranch_execz .LBB60_19
; %bb.18:                               ;   in Loop: Header=BB60_10 Depth=3
	v_ashrrev_i32_e32 v3, 31, v2
	s_delay_alu instid0(VALU_DEP_1)
	v_lshl_add_u64 v[2:3], v[2:3], 4, v[16:17]
	s_wait_loadcnt_dscnt 0x0
	flat_load_b128 v[4:7], v[2:3]
	s_wait_loadcnt_dscnt 0x0
	v_xor_b32_e32 v7, 0x80000000, v7
.LBB60_19:                              ;   in Loop: Header=BB60_10 Depth=3
	s_or_b32 exec_lo, exec_lo, s0
.LBB60_20:                              ;   in Loop: Header=BB60_10 Depth=3
	s_delay_alu instid0(SALU_CYCLE_1)
	s_or_b32 exec_lo, exec_lo, s43
	v_add_nc_u32_e32 v26, s42, v28
	v_mov_b64_e32 v[2:3], 0
	s_wait_loadcnt_dscnt 0x0
	ds_store_b128 v32, v[4:7]
	v_cmp_gt_i32_e64 s0, s25, v26
	s_and_b32 s1, s0, vcc_lo
	s_delay_alu instid0(SALU_CYCLE_1)
	s_and_saveexec_b32 s0, s1
	s_cbranch_execz .LBB60_22
; %bb.21:                               ;   in Loop: Header=BB60_10 Depth=3
	v_ashrrev_i32_e32 v27, 31, v26
	s_delay_alu instid0(VALU_DEP_1)
	v_lshl_add_u64 v[0:1], v[26:27], 4, v[22:23]
	flat_load_b128 v[0:3], v[0:1]
.LBB60_22:                              ;   in Loop: Header=BB60_10 Depth=3
	s_wait_xcnt 0x0
	s_or_b32 exec_lo, exec_lo, s0
	v_add_nc_u32_e32 v4, v31, v30
	s_wait_loadcnt_dscnt 0x0
	ds_store_b128 v4, v[0:3]
	s_wait_dscnt 0x0
	s_barrier_signal -1
	s_barrier_wait -1
	s_and_saveexec_b32 s0, s41
	s_cbranch_execz .LBB60_9
; %bb.23:                               ;   in Loop: Header=BB60_10 Depth=3
	v_mov_b64_e32 v[0:1], 0
	v_mov_b64_e32 v[2:3], 0
	v_mov_b32_e32 v4, v31
	s_mov_b32 s1, 0
.LBB60_24:                              ;   Parent Loop BB60_4 Depth=1
                                        ;     Parent Loop BB60_7 Depth=2
                                        ;       Parent Loop BB60_10 Depth=3
                                        ; =>      This Inner Loop Header: Depth=4
	s_delay_alu instid0(SALU_CYCLE_1)
	v_add_nc_u32_e32 v5, s1, v30
	s_addk_co_i32 s1, 0x80
	ds_load_b128 v[34:37], v4
	ds_load_b128 v[38:41], v5
	ds_load_b128 v[42:45], v4 offset:512
	ds_load_b128 v[46:49], v5 offset:16
	s_cmp_eq_u32 s1, 0x200
	s_wait_dscnt 0x2
	v_mul_f64_e32 v[6:7], v[36:37], v[40:41]
	v_mul_f64_e32 v[26:27], v[34:35], v[40:41]
	s_wait_dscnt 0x0
	v_mul_f64_e32 v[56:57], v[44:45], v[48:49]
	v_mul_f64_e32 v[58:59], v[42:43], v[48:49]
	s_delay_alu instid0(VALU_DEP_4) | instskip(NEXT) | instid1(VALU_DEP_4)
	v_fma_f64 v[6:7], v[34:35], v[38:39], -v[6:7]
	v_fmac_f64_e32 v[26:27], v[36:37], v[38:39]
	ds_load_b128 v[34:37], v4 offset:1024
	ds_load_b128 v[38:41], v5 offset:32
	;; [unrolled: 1-line block ×4, first 2 shown]
	v_fmac_f64_e32 v[58:59], v[44:45], v[46:47]
	s_wait_dscnt 0x2
	v_mul_f64_e32 v[60:61], v[36:37], v[40:41]
	v_mul_f64_e32 v[62:63], v[34:35], v[40:41]
	v_fma_f64 v[40:41], v[42:43], v[46:47], -v[56:57]
	v_add_f64_e32 v[0:1], v[0:1], v[6:7]
	v_add_f64_e32 v[2:3], v[2:3], v[26:27]
	s_wait_dscnt 0x0
	v_mul_f64_e32 v[6:7], v[50:51], v[54:55]
	v_mul_f64_e32 v[26:27], v[48:49], v[54:55]
	v_fma_f64 v[46:47], v[34:35], v[38:39], -v[60:61]
	v_fmac_f64_e32 v[62:63], v[36:37], v[38:39]
	v_add_f64_e32 v[54:55], v[0:1], v[40:41]
	v_add_f64_e32 v[56:57], v[2:3], v[58:59]
	ds_load_b128 v[0:3], v4 offset:2048
	ds_load_b128 v[34:37], v5 offset:64
	ds_load_b128 v[38:41], v4 offset:2560
	ds_load_b128 v[42:45], v5 offset:80
	v_fma_f64 v[6:7], v[48:49], v[52:53], -v[6:7]
	v_fmac_f64_e32 v[26:27], v[50:51], v[52:53]
	s_wait_dscnt 0x2
	v_mul_f64_e32 v[58:59], v[2:3], v[36:37]
	v_mul_f64_e32 v[60:61], v[0:1], v[36:37]
	s_wait_dscnt 0x0
	v_mul_f64_e32 v[52:53], v[40:41], v[44:45]
	v_add_f64_e32 v[36:37], v[54:55], v[46:47]
	v_add_f64_e32 v[46:47], v[56:57], v[62:63]
	v_mul_f64_e32 v[54:55], v[38:39], v[44:45]
	v_fma_f64 v[56:57], v[0:1], v[34:35], -v[58:59]
	v_fmac_f64_e32 v[60:61], v[2:3], v[34:35]
	v_fma_f64 v[38:39], v[38:39], v[42:43], -v[52:53]
	v_add_f64_e32 v[6:7], v[36:37], v[6:7]
	v_add_f64_e32 v[26:27], v[46:47], v[26:27]
	ds_load_b128 v[0:3], v4 offset:3072
	ds_load_b128 v[34:37], v5 offset:96
	;; [unrolled: 1-line block ×4, first 2 shown]
	v_fmac_f64_e32 v[54:55], v[40:41], v[42:43]
	v_add_nc_u32_e32 v4, 0x1000, v4
	s_wait_dscnt 0x2
	v_mul_f64_e32 v[58:59], v[2:3], v[36:37]
	v_mul_f64_e32 v[36:37], v[0:1], v[36:37]
	s_wait_dscnt 0x0
	v_mul_f64_e32 v[40:41], v[46:47], v[50:51]
	v_mul_f64_e32 v[42:43], v[44:45], v[50:51]
	v_add_f64_e32 v[6:7], v[6:7], v[56:57]
	v_add_f64_e32 v[26:27], v[26:27], v[60:61]
	v_fma_f64 v[0:1], v[0:1], v[34:35], -v[58:59]
	v_fmac_f64_e32 v[36:37], v[2:3], v[34:35]
	v_fmac_f64_e32 v[42:43], v[46:47], v[48:49]
	v_add_f64_e32 v[2:3], v[6:7], v[38:39]
	v_add_f64_e32 v[6:7], v[26:27], v[54:55]
	v_fma_f64 v[26:27], v[44:45], v[48:49], -v[40:41]
	s_delay_alu instid0(VALU_DEP_3) | instskip(NEXT) | instid1(VALU_DEP_3)
	v_add_f64_e32 v[0:1], v[2:3], v[0:1]
	v_add_f64_e32 v[2:3], v[6:7], v[36:37]
	s_delay_alu instid0(VALU_DEP_2) | instskip(NEXT) | instid1(VALU_DEP_2)
	v_add_f64_e32 v[0:1], v[0:1], v[26:27]
	v_add_f64_e32 v[2:3], v[2:3], v[42:43]
	s_cbranch_scc0 .LBB60_24
; %bb.25:                               ;   in Loop: Header=BB60_10 Depth=3
	flat_load_b128 v[4:7], v[24:25]
	v_mul_f64_e32 v[26:27], s[14:15], v[2:3]
	v_mul_f64_e32 v[34:35], s[14:15], v[0:1]
	s_delay_alu instid0(VALU_DEP_2) | instskip(NEXT) | instid1(VALU_DEP_2)
	v_fma_f64 v[0:1], s[12:13], v[0:1], -v[26:27]
	v_fmac_f64_e32 v[34:35], s[12:13], v[2:3]
	s_wait_loadcnt_dscnt 0x0
	s_delay_alu instid0(VALU_DEP_2) | instskip(NEXT) | instid1(VALU_DEP_2)
	v_add_f64_e32 v[0:1], v[0:1], v[4:5]
	v_add_f64_e32 v[2:3], v[34:35], v[6:7]
	flat_store_b128 v[24:25], v[0:3]
	s_branch .LBB60_9
.LBB60_26:
	s_endpgm
	.section	.rodata,"a",@progbits
	.p2align	6, 0x0
	.amdhsa_kernel _ZL24rocblas_symm_hemm_kernelILb1ELb0ELi32EPK19rocblas_complex_numIdEPKS3_PKPS1_EvbiiT2_T3_lllSA_lllT4_llli
		.amdhsa_group_segment_fixed_size 32768
		.amdhsa_private_segment_fixed_size 0
		.amdhsa_kernarg_size 384
		.amdhsa_user_sgpr_count 2
		.amdhsa_user_sgpr_dispatch_ptr 0
		.amdhsa_user_sgpr_queue_ptr 0
		.amdhsa_user_sgpr_kernarg_segment_ptr 1
		.amdhsa_user_sgpr_dispatch_id 0
		.amdhsa_user_sgpr_kernarg_preload_length 0
		.amdhsa_user_sgpr_kernarg_preload_offset 0
		.amdhsa_user_sgpr_private_segment_size 0
		.amdhsa_wavefront_size32 1
		.amdhsa_uses_dynamic_stack 0
		.amdhsa_enable_private_segment 0
		.amdhsa_system_sgpr_workgroup_id_x 1
		.amdhsa_system_sgpr_workgroup_id_y 1
		.amdhsa_system_sgpr_workgroup_id_z 1
		.amdhsa_system_sgpr_workgroup_info 0
		.amdhsa_system_vgpr_workitem_id 1
		.amdhsa_next_free_vgpr 64
		.amdhsa_next_free_sgpr 45
		.amdhsa_named_barrier_count 0
		.amdhsa_reserve_vcc 1
		.amdhsa_float_round_mode_32 0
		.amdhsa_float_round_mode_16_64 0
		.amdhsa_float_denorm_mode_32 3
		.amdhsa_float_denorm_mode_16_64 3
		.amdhsa_fp16_overflow 0
		.amdhsa_memory_ordered 1
		.amdhsa_forward_progress 1
		.amdhsa_inst_pref_size 12
		.amdhsa_round_robin_scheduling 0
		.amdhsa_exception_fp_ieee_invalid_op 0
		.amdhsa_exception_fp_denorm_src 0
		.amdhsa_exception_fp_ieee_div_zero 0
		.amdhsa_exception_fp_ieee_overflow 0
		.amdhsa_exception_fp_ieee_underflow 0
		.amdhsa_exception_fp_ieee_inexact 0
		.amdhsa_exception_int_div_zero 0
	.end_amdhsa_kernel
	.section	.text._ZL24rocblas_symm_hemm_kernelILb1ELb0ELi32EPK19rocblas_complex_numIdEPKS3_PKPS1_EvbiiT2_T3_lllSA_lllT4_llli,"axG",@progbits,_ZL24rocblas_symm_hemm_kernelILb1ELb0ELi32EPK19rocblas_complex_numIdEPKS3_PKPS1_EvbiiT2_T3_lllSA_lllT4_llli,comdat
.Lfunc_end60:
	.size	_ZL24rocblas_symm_hemm_kernelILb1ELb0ELi32EPK19rocblas_complex_numIdEPKS3_PKPS1_EvbiiT2_T3_lllSA_lllT4_llli, .Lfunc_end60-_ZL24rocblas_symm_hemm_kernelILb1ELb0ELi32EPK19rocblas_complex_numIdEPKS3_PKPS1_EvbiiT2_T3_lllSA_lllT4_llli
                                        ; -- End function
	.set _ZL24rocblas_symm_hemm_kernelILb1ELb0ELi32EPK19rocblas_complex_numIdEPKS3_PKPS1_EvbiiT2_T3_lllSA_lllT4_llli.num_vgpr, 64
	.set _ZL24rocblas_symm_hemm_kernelILb1ELb0ELi32EPK19rocblas_complex_numIdEPKS3_PKPS1_EvbiiT2_T3_lllSA_lllT4_llli.num_agpr, 0
	.set _ZL24rocblas_symm_hemm_kernelILb1ELb0ELi32EPK19rocblas_complex_numIdEPKS3_PKPS1_EvbiiT2_T3_lllSA_lllT4_llli.numbered_sgpr, 45
	.set _ZL24rocblas_symm_hemm_kernelILb1ELb0ELi32EPK19rocblas_complex_numIdEPKS3_PKPS1_EvbiiT2_T3_lllSA_lllT4_llli.num_named_barrier, 0
	.set _ZL24rocblas_symm_hemm_kernelILb1ELb0ELi32EPK19rocblas_complex_numIdEPKS3_PKPS1_EvbiiT2_T3_lllSA_lllT4_llli.private_seg_size, 0
	.set _ZL24rocblas_symm_hemm_kernelILb1ELb0ELi32EPK19rocblas_complex_numIdEPKS3_PKPS1_EvbiiT2_T3_lllSA_lllT4_llli.uses_vcc, 1
	.set _ZL24rocblas_symm_hemm_kernelILb1ELb0ELi32EPK19rocblas_complex_numIdEPKS3_PKPS1_EvbiiT2_T3_lllSA_lllT4_llli.uses_flat_scratch, 0
	.set _ZL24rocblas_symm_hemm_kernelILb1ELb0ELi32EPK19rocblas_complex_numIdEPKS3_PKPS1_EvbiiT2_T3_lllSA_lllT4_llli.has_dyn_sized_stack, 0
	.set _ZL24rocblas_symm_hemm_kernelILb1ELb0ELi32EPK19rocblas_complex_numIdEPKS3_PKPS1_EvbiiT2_T3_lllSA_lllT4_llli.has_recursion, 0
	.set _ZL24rocblas_symm_hemm_kernelILb1ELb0ELi32EPK19rocblas_complex_numIdEPKS3_PKPS1_EvbiiT2_T3_lllSA_lllT4_llli.has_indirect_call, 0
	.section	.AMDGPU.csdata,"",@progbits
; Kernel info:
; codeLenInByte = 1520
; TotalNumSgprs: 47
; NumVgprs: 64
; ScratchSize: 0
; MemoryBound: 1
; FloatMode: 240
; IeeeMode: 1
; LDSByteSize: 32768 bytes/workgroup (compile time only)
; SGPRBlocks: 0
; VGPRBlocks: 3
; NumSGPRsForWavesPerEU: 47
; NumVGPRsForWavesPerEU: 64
; NamedBarCnt: 0
; Occupancy: 16
; WaveLimiterHint : 1
; COMPUTE_PGM_RSRC2:SCRATCH_EN: 0
; COMPUTE_PGM_RSRC2:USER_SGPR: 2
; COMPUTE_PGM_RSRC2:TRAP_HANDLER: 0
; COMPUTE_PGM_RSRC2:TGID_X_EN: 1
; COMPUTE_PGM_RSRC2:TGID_Y_EN: 1
; COMPUTE_PGM_RSRC2:TGID_Z_EN: 1
; COMPUTE_PGM_RSRC2:TIDIG_COMP_CNT: 1
	.section	.text._ZL24rocblas_symm_hemm_kernelILb1ELb1ELi32EPK19rocblas_complex_numIdEPKS3_PKPS1_EvbiiT2_T3_lllSA_lllT4_llli,"axG",@progbits,_ZL24rocblas_symm_hemm_kernelILb1ELb1ELi32EPK19rocblas_complex_numIdEPKS3_PKPS1_EvbiiT2_T3_lllSA_lllT4_llli,comdat
	.globl	_ZL24rocblas_symm_hemm_kernelILb1ELb1ELi32EPK19rocblas_complex_numIdEPKS3_PKPS1_EvbiiT2_T3_lllSA_lllT4_llli ; -- Begin function _ZL24rocblas_symm_hemm_kernelILb1ELb1ELi32EPK19rocblas_complex_numIdEPKS3_PKPS1_EvbiiT2_T3_lllSA_lllT4_llli
	.p2align	8
	.type	_ZL24rocblas_symm_hemm_kernelILb1ELb1ELi32EPK19rocblas_complex_numIdEPKS3_PKPS1_EvbiiT2_T3_lllSA_lllT4_llli,@function
_ZL24rocblas_symm_hemm_kernelILb1ELb1ELi32EPK19rocblas_complex_numIdEPKS3_PKPS1_EvbiiT2_T3_lllSA_lllT4_llli: ; @_ZL24rocblas_symm_hemm_kernelILb1ELb1ELi32EPK19rocblas_complex_numIdEPKS3_PKPS1_EvbiiT2_T3_lllSA_lllT4_llli
; %bb.0:
	s_load_b256 s[4:11], s[0:1], 0x10
	s_wait_kmcnt 0x0
	s_load_b128 s[12:15], s[4:5], 0x0
	s_wait_kmcnt 0x0
	v_cmp_eq_f64_e64 s2, s[12:13], 0
	v_cmp_eq_f64_e64 s3, s[14:15], 0
	s_and_b32 s2, s2, s3
	s_delay_alu instid0(SALU_CYCLE_1)
	s_and_b32 vcc_lo, exec_lo, s2
	s_cbranch_vccnz .LBB61_26
; %bb.1:
	s_load_b32 s27, s[0:1], 0x78
	s_bfe_u32 s2, ttmp6, 0x40014
	s_lshr_b32 s4, ttmp7, 16
	s_add_co_i32 s2, s2, 1
	s_bfe_u32 s5, ttmp6, 0x40008
	s_mul_i32 s2, s4, s2
	s_getreg_b32 s3, hwreg(HW_REG_IB_STS2, 6, 4)
	s_add_co_i32 s5, s5, s2
	s_cmp_eq_u32 s3, 0
	s_cselect_b32 s33, s4, s5
	s_wait_kmcnt 0x0
	s_cmp_ge_u32 s33, s27
	s_cbranch_scc1 .LBB61_26
; %bb.2:
	s_clause 0x2
	s_load_b96 s[24:26], s[0:1], 0x0
	s_load_b128 s[16:19], s[0:1], 0x38
	s_load_b64 s[4:5], s[0:1], 0x68
	v_and_b32_e32 v26, 0x3ff, v0
	s_clause 0x1
	s_load_b64 s[28:29], s[0:1], 0x48
	s_load_b128 s[20:23], s[0:1], 0x58
	v_bfe_u32 v27, v0, 10, 10
	s_delay_alu instid0(VALU_DEP_1) | instskip(NEXT) | instid1(VALU_DEP_1)
	v_dual_lshlrev_b32 v28, 9, v26 :: v_dual_lshlrev_b32 v2, 4, v27
	v_or_b32_e32 v29, 0x4000, v2
	s_delay_alu instid0(VALU_DEP_2) | instskip(SKIP_2) | instid1(VALU_DEP_2)
	v_add_nc_u32_e32 v30, v28, v2
	s_wait_kmcnt 0x0
	s_bitcmp1_b32 s24, 0
	v_add_nc_u32_e32 v31, v29, v28
	s_cselect_b32 s2, -1, 0
	s_add_co_i32 s24, s26, -1
	s_bfe_u32 s31, ttmp6, 0x4000c
	s_bfe_u32 s34, ttmp6, 0x40010
	s_ashr_i32 s37, s24, 31
	s_and_b32 s35, ttmp7, 0xffff
	s_add_co_i32 s31, s31, 1
	s_add_co_i32 s34, s34, 1
	s_lshr_b32 s37, s37, 27
	s_and_b32 s30, ttmp6, 15
	s_bfe_u32 s36, ttmp6, 0x40004
	s_mul_i32 s31, ttmp9, s31
	s_mul_i32 s34, s35, s34
	s_add_co_i32 s24, s24, s37
	s_add_co_i32 s30, s30, s31
	;; [unrolled: 1-line block ×3, first 2 shown]
	s_ashr_i32 s34, s24, 5
	s_cmp_eq_u32 s3, 0
	s_cselect_b32 s3, ttmp9, s30
	s_cselect_b32 s35, s35, s36
	v_lshl_add_u32 v0, s3, 5, v26
	s_cmp_le_i32 s35, s34
	s_cselect_b32 s36, -1, 0
	s_cmp_gt_i32 s26, 0
	s_delay_alu instid0(VALU_DEP_1)
	v_ashrrev_i32_e32 v1, 31, v0
	v_cmp_gt_i32_e64 s3, s25, v0
	s_add_nc_u64 s[24:25], s[0:1], 0x80
	s_cselect_b32 s1, -1, 0
	s_lshl_b64 s[8:9], s[8:9], 4
	v_lshlrev_b64_e32 v[8:9], 4, v[0:1]
	s_lshl_b64 s[22:23], s[22:23], 4
	s_lshl_b64 s[18:19], s[18:19], 4
	s_branch .LBB61_4
.LBB61_3:                               ;   in Loop: Header=BB61_4 Depth=1
	s_add_co_i32 s33, s33, 0x10000
	s_delay_alu instid0(SALU_CYCLE_1)
	s_cmp_lt_u32 s33, s27
	s_cbranch_scc0 .LBB61_26
.LBB61_4:                               ; =>This Loop Header: Depth=1
                                        ;     Child Loop BB61_7 Depth 2
                                        ;       Child Loop BB61_10 Depth 3
                                        ;         Child Loop BB61_24 Depth 4
	s_and_not1_b32 vcc_lo, exec_lo, s36
	s_cbranch_vccnz .LBB61_3
; %bb.5:                                ;   in Loop: Header=BB61_4 Depth=1
	s_load_b64 s[30:31], s[16:17], s33 offset:0x0 scale_offset
	s_load_b64 s[38:39], s[20:21], s33 offset:0x0 scale_offset
	;; [unrolled: 1-line block ×3, first 2 shown]
	s_load_b32 s37, s[24:25], 0x4
	s_wait_kmcnt 0x0
	s_add_nc_u64 s[30:31], s[30:31], s[18:19]
	s_add_nc_u64 s[38:39], s[38:39], s[22:23]
	v_add_nc_u64_e32 v[10:11], s[30:31], v[8:9]
	v_add_nc_u64_e32 v[12:13], s[38:39], v[8:9]
	s_add_nc_u64 s[30:31], s[40:41], s[8:9]
	s_mov_b32 s38, s35
	s_branch .LBB61_7
.LBB61_6:                               ;   in Loop: Header=BB61_7 Depth=2
	s_add_co_i32 s38, s38, s37
	s_delay_alu instid0(SALU_CYCLE_1)
	s_cmp_gt_i32 s38, s34
	s_cbranch_scc1 .LBB61_3
.LBB61_7:                               ;   Parent Loop BB61_4 Depth=1
                                        ; =>  This Loop Header: Depth=2
                                        ;       Child Loop BB61_10 Depth 3
                                        ;         Child Loop BB61_24 Depth 4
	s_and_not1_b32 vcc_lo, exec_lo, s1
	s_cbranch_vccnz .LBB61_6
; %bb.8:                                ;   in Loop: Header=BB61_7 Depth=2
	v_lshl_add_u32 v14, s38, 5, v27
	s_mov_b32 s40, 0
	s_delay_alu instid0(VALU_DEP_1) | instskip(SKIP_1) | instid1(VALU_DEP_2)
	v_ashrrev_i32_e32 v15, 31, v14
	v_cmp_gt_i32_e32 vcc_lo, s26, v14
	v_mul_u64_e32 v[0:1], s[10:11], v[14:15]
	v_mul_u64_e32 v[2:3], s[4:5], v[14:15]
	v_lshlrev_b64_e32 v[4:5], 4, v[14:15]
	s_and_b32 s39, s3, vcc_lo
	s_delay_alu instid0(VALU_DEP_1) | instskip(NEXT) | instid1(VALU_DEP_4)
	v_add_nc_u64_e32 v[18:19], s[30:31], v[4:5]
	v_lshl_add_u64 v[16:17], v[0:1], 4, s[30:31]
	s_delay_alu instid0(VALU_DEP_4) | instskip(NEXT) | instid1(VALU_DEP_2)
	v_lshl_add_u64 v[22:23], v[2:3], 4, v[12:13]
	v_add_nc_u64_e32 v[20:21], v[16:17], v[4:5]
	s_branch .LBB61_10
.LBB61_9:                               ;   in Loop: Header=BB61_10 Depth=3
	s_wait_xcnt 0x0
	s_or_b32 exec_lo, exec_lo, s0
	s_add_co_i32 s40, s40, 32
	s_wait_storecnt_dscnt 0x0
	s_cmp_ge_i32 s40, s26
	s_barrier_signal -1
	s_barrier_wait -1
	s_cbranch_scc1 .LBB61_6
.LBB61_10:                              ;   Parent Loop BB61_4 Depth=1
                                        ;     Parent Loop BB61_7 Depth=2
                                        ; =>    This Loop Header: Depth=3
                                        ;         Child Loop BB61_24 Depth 4
	v_add_nc_u32_e32 v2, s40, v27
	v_mov_b64_e32 v[0:1], 0
	v_mov_b64_e32 v[4:5], 0
	;; [unrolled: 1-line block ×3, first 2 shown]
	s_delay_alu instid0(VALU_DEP_4) | instskip(SKIP_1) | instid1(SALU_CYCLE_1)
	v_cmp_gt_i32_e32 vcc_lo, s26, v2
	s_and_b32 s41, s3, vcc_lo
	s_and_saveexec_b32 s0, s41
	s_cbranch_execz .LBB61_12
; %bb.11:                               ;   in Loop: Header=BB61_10 Depth=3
	v_ashrrev_i32_e32 v3, 31, v2
	s_delay_alu instid0(VALU_DEP_1) | instskip(NEXT) | instid1(VALU_DEP_1)
	v_mul_u64_e32 v[2:3], s[28:29], v[2:3]
	v_lshl_add_u64 v[2:3], v[2:3], 4, v[10:11]
	flat_load_b128 v[4:7], v[2:3]
.LBB61_12:                              ;   in Loop: Header=BB61_10 Depth=3
	s_wait_xcnt 0x0
	s_or_b32 exec_lo, exec_lo, s0
	v_add_nc_u32_e32 v24, s40, v26
	s_mov_b32 s41, exec_lo
	s_wait_loadcnt_dscnt 0x0
	ds_store_b128 v30, v[4:7]
	v_dual_cndmask_b32 v15, v14, v24, s2 :: v_dual_cndmask_b32 v25, v24, v14, s2
	s_delay_alu instid0(VALU_DEP_1) | instskip(SKIP_2) | instid1(VALU_DEP_2)
	v_cmp_gt_i32_e32 vcc_lo, v15, v25
	v_dual_cndmask_b32 v2, v24, v14 :: v_dual_cndmask_b32 v3, v14, v24
	v_cmp_le_i32_e32 vcc_lo, v15, v25
	v_max_i32_e32 v32, v2, v3
	v_mov_b64_e32 v[2:3], 0
	s_delay_alu instid0(VALU_DEP_2)
	v_cmpx_gt_i32_e64 s26, v32
	s_cbranch_execz .LBB61_22
; %bb.13:                               ;   in Loop: Header=BB61_10 Depth=3
                                        ; implicit-def: $vgpr2_vgpr3
	s_and_saveexec_b32 s0, vcc_lo
	s_delay_alu instid0(SALU_CYCLE_1)
	s_xor_b32 s0, exec_lo, s0
	s_cbranch_execz .LBB61_19
; %bb.14:                               ;   in Loop: Header=BB61_10 Depth=3
	s_mov_b32 s42, exec_lo
                                        ; implicit-def: $vgpr2_vgpr3
	v_cmpx_ne_u32_e64 v24, v14
	s_xor_b32 s42, exec_lo, s42
	s_cbranch_execz .LBB61_16
; %bb.15:                               ;   in Loop: Header=BB61_10 Depth=3
	v_ashrrev_i32_e32 v25, 31, v24
	s_delay_alu instid0(VALU_DEP_1)
	v_lshl_add_u64 v[0:1], v[24:25], 4, v[16:17]
	flat_load_b128 v[0:3], v[0:1]
.LBB61_16:                              ;   in Loop: Header=BB61_10 Depth=3
	s_wait_xcnt 0x0
	s_and_not1_saveexec_b32 s42, s42
	s_cbranch_execz .LBB61_18
; %bb.17:                               ;   in Loop: Header=BB61_10 Depth=3
	s_wait_loadcnt_dscnt 0x0
	flat_load_b64 v[0:1], v[20:21]
	v_mov_b64_e32 v[2:3], 0
.LBB61_18:                              ;   in Loop: Header=BB61_10 Depth=3
	s_wait_xcnt 0x0
	s_or_b32 exec_lo, exec_lo, s42
                                        ; implicit-def: $vgpr24
.LBB61_19:                              ;   in Loop: Header=BB61_10 Depth=3
	s_and_not1_saveexec_b32 s0, s0
	s_cbranch_execz .LBB61_21
; %bb.20:                               ;   in Loop: Header=BB61_10 Depth=3
	v_ashrrev_i32_e32 v25, 31, v24
	s_wait_loadcnt_dscnt 0x0
	s_delay_alu instid0(VALU_DEP_1) | instskip(NEXT) | instid1(VALU_DEP_1)
	v_mul_u64_e32 v[0:1], s[10:11], v[24:25]
	v_lshl_add_u64 v[0:1], v[0:1], 4, v[18:19]
	flat_load_b128 v[0:3], v[0:1]
	s_wait_loadcnt_dscnt 0x0
	v_xor_b32_e32 v3, 0x80000000, v3
.LBB61_21:                              ;   in Loop: Header=BB61_10 Depth=3
	s_or_b32 exec_lo, exec_lo, s0
.LBB61_22:                              ;   in Loop: Header=BB61_10 Depth=3
	s_delay_alu instid0(SALU_CYCLE_1)
	s_or_b32 exec_lo, exec_lo, s41
	s_wait_loadcnt_dscnt 0x0
	ds_store_b128 v31, v[0:3]
	s_wait_dscnt 0x0
	s_barrier_signal -1
	s_barrier_wait -1
	s_and_saveexec_b32 s0, s39
	s_cbranch_execz .LBB61_9
; %bb.23:                               ;   in Loop: Header=BB61_10 Depth=3
	v_mov_b64_e32 v[0:1], 0
	v_mov_b64_e32 v[2:3], 0
	v_mov_b32_e32 v4, v29
	s_mov_b32 s41, 0
.LBB61_24:                              ;   Parent Loop BB61_4 Depth=1
                                        ;     Parent Loop BB61_7 Depth=2
                                        ;       Parent Loop BB61_10 Depth=3
                                        ; =>      This Inner Loop Header: Depth=4
	s_delay_alu instid0(SALU_CYCLE_1)
	v_add_nc_u32_e32 v5, s41, v28
	s_addk_co_i32 s41, 0x80
	ds_load_b128 v[32:35], v4
	ds_load_b128 v[36:39], v5
	ds_load_b128 v[40:43], v4 offset:512
	ds_load_b128 v[44:47], v5 offset:16
	s_cmp_eq_u32 s41, 0x200
	s_wait_dscnt 0x2
	v_mul_f64_e32 v[6:7], v[34:35], v[38:39]
	v_mul_f64_e32 v[24:25], v[32:33], v[38:39]
	s_wait_dscnt 0x0
	v_mul_f64_e32 v[54:55], v[42:43], v[46:47]
	v_mul_f64_e32 v[56:57], v[40:41], v[46:47]
	s_delay_alu instid0(VALU_DEP_4) | instskip(NEXT) | instid1(VALU_DEP_4)
	v_fma_f64 v[6:7], v[32:33], v[36:37], -v[6:7]
	v_fmac_f64_e32 v[24:25], v[34:35], v[36:37]
	ds_load_b128 v[32:35], v4 offset:1024
	ds_load_b128 v[36:39], v5 offset:32
	;; [unrolled: 1-line block ×4, first 2 shown]
	v_fmac_f64_e32 v[56:57], v[42:43], v[44:45]
	s_wait_dscnt 0x2
	v_mul_f64_e32 v[58:59], v[34:35], v[38:39]
	v_mul_f64_e32 v[60:61], v[32:33], v[38:39]
	v_fma_f64 v[38:39], v[40:41], v[44:45], -v[54:55]
	v_add_f64_e32 v[0:1], v[0:1], v[6:7]
	v_add_f64_e32 v[2:3], v[2:3], v[24:25]
	s_wait_dscnt 0x0
	v_mul_f64_e32 v[6:7], v[48:49], v[52:53]
	v_mul_f64_e32 v[24:25], v[46:47], v[52:53]
	v_fma_f64 v[44:45], v[32:33], v[36:37], -v[58:59]
	v_fmac_f64_e32 v[60:61], v[34:35], v[36:37]
	v_add_f64_e32 v[52:53], v[0:1], v[38:39]
	v_add_f64_e32 v[54:55], v[2:3], v[56:57]
	ds_load_b128 v[0:3], v4 offset:2048
	ds_load_b128 v[32:35], v5 offset:64
	;; [unrolled: 1-line block ×4, first 2 shown]
	v_fma_f64 v[6:7], v[46:47], v[50:51], -v[6:7]
	v_fmac_f64_e32 v[24:25], v[48:49], v[50:51]
	s_wait_dscnt 0x2
	v_mul_f64_e32 v[56:57], v[2:3], v[34:35]
	v_mul_f64_e32 v[58:59], v[0:1], v[34:35]
	s_wait_dscnt 0x0
	v_mul_f64_e32 v[50:51], v[38:39], v[42:43]
	v_add_f64_e32 v[34:35], v[52:53], v[44:45]
	v_add_f64_e32 v[44:45], v[54:55], v[60:61]
	v_mul_f64_e32 v[52:53], v[36:37], v[42:43]
	v_fma_f64 v[54:55], v[0:1], v[32:33], -v[56:57]
	v_fmac_f64_e32 v[58:59], v[2:3], v[32:33]
	v_fma_f64 v[36:37], v[36:37], v[40:41], -v[50:51]
	v_add_f64_e32 v[6:7], v[34:35], v[6:7]
	v_add_f64_e32 v[24:25], v[44:45], v[24:25]
	ds_load_b128 v[0:3], v4 offset:3072
	ds_load_b128 v[32:35], v5 offset:96
	;; [unrolled: 1-line block ×4, first 2 shown]
	v_fmac_f64_e32 v[52:53], v[38:39], v[40:41]
	v_add_nc_u32_e32 v4, 0x1000, v4
	s_wait_dscnt 0x2
	v_mul_f64_e32 v[56:57], v[2:3], v[34:35]
	v_mul_f64_e32 v[34:35], v[0:1], v[34:35]
	s_wait_dscnt 0x0
	v_mul_f64_e32 v[38:39], v[44:45], v[48:49]
	v_mul_f64_e32 v[40:41], v[42:43], v[48:49]
	v_add_f64_e32 v[6:7], v[6:7], v[54:55]
	v_add_f64_e32 v[24:25], v[24:25], v[58:59]
	v_fma_f64 v[0:1], v[0:1], v[32:33], -v[56:57]
	v_fmac_f64_e32 v[34:35], v[2:3], v[32:33]
	v_fmac_f64_e32 v[40:41], v[44:45], v[46:47]
	v_add_f64_e32 v[2:3], v[6:7], v[36:37]
	v_add_f64_e32 v[6:7], v[24:25], v[52:53]
	v_fma_f64 v[24:25], v[42:43], v[46:47], -v[38:39]
	s_delay_alu instid0(VALU_DEP_3) | instskip(NEXT) | instid1(VALU_DEP_3)
	v_add_f64_e32 v[0:1], v[2:3], v[0:1]
	v_add_f64_e32 v[2:3], v[6:7], v[34:35]
	s_delay_alu instid0(VALU_DEP_2) | instskip(NEXT) | instid1(VALU_DEP_2)
	v_add_f64_e32 v[0:1], v[0:1], v[24:25]
	v_add_f64_e32 v[2:3], v[2:3], v[40:41]
	s_cbranch_scc0 .LBB61_24
; %bb.25:                               ;   in Loop: Header=BB61_10 Depth=3
	flat_load_b128 v[4:7], v[22:23]
	v_mul_f64_e32 v[24:25], s[14:15], v[2:3]
	v_mul_f64_e32 v[32:33], s[14:15], v[0:1]
	s_delay_alu instid0(VALU_DEP_2) | instskip(NEXT) | instid1(VALU_DEP_2)
	v_fma_f64 v[0:1], s[12:13], v[0:1], -v[24:25]
	v_fmac_f64_e32 v[32:33], s[12:13], v[2:3]
	s_wait_loadcnt_dscnt 0x0
	s_delay_alu instid0(VALU_DEP_2) | instskip(NEXT) | instid1(VALU_DEP_2)
	v_add_f64_e32 v[0:1], v[0:1], v[4:5]
	v_add_f64_e32 v[2:3], v[32:33], v[6:7]
	flat_store_b128 v[22:23], v[0:3]
	s_branch .LBB61_9
.LBB61_26:
	s_endpgm
	.section	.rodata,"a",@progbits
	.p2align	6, 0x0
	.amdhsa_kernel _ZL24rocblas_symm_hemm_kernelILb1ELb1ELi32EPK19rocblas_complex_numIdEPKS3_PKPS1_EvbiiT2_T3_lllSA_lllT4_llli
		.amdhsa_group_segment_fixed_size 32768
		.amdhsa_private_segment_fixed_size 0
		.amdhsa_kernarg_size 384
		.amdhsa_user_sgpr_count 2
		.amdhsa_user_sgpr_dispatch_ptr 0
		.amdhsa_user_sgpr_queue_ptr 0
		.amdhsa_user_sgpr_kernarg_segment_ptr 1
		.amdhsa_user_sgpr_dispatch_id 0
		.amdhsa_user_sgpr_kernarg_preload_length 0
		.amdhsa_user_sgpr_kernarg_preload_offset 0
		.amdhsa_user_sgpr_private_segment_size 0
		.amdhsa_wavefront_size32 1
		.amdhsa_uses_dynamic_stack 0
		.amdhsa_enable_private_segment 0
		.amdhsa_system_sgpr_workgroup_id_x 1
		.amdhsa_system_sgpr_workgroup_id_y 1
		.amdhsa_system_sgpr_workgroup_id_z 1
		.amdhsa_system_sgpr_workgroup_info 0
		.amdhsa_system_vgpr_workitem_id 1
		.amdhsa_next_free_vgpr 62
		.amdhsa_next_free_sgpr 43
		.amdhsa_named_barrier_count 0
		.amdhsa_reserve_vcc 1
		.amdhsa_float_round_mode_32 0
		.amdhsa_float_round_mode_16_64 0
		.amdhsa_float_denorm_mode_32 3
		.amdhsa_float_denorm_mode_16_64 3
		.amdhsa_fp16_overflow 0
		.amdhsa_memory_ordered 1
		.amdhsa_forward_progress 1
		.amdhsa_inst_pref_size 12
		.amdhsa_round_robin_scheduling 0
		.amdhsa_exception_fp_ieee_invalid_op 0
		.amdhsa_exception_fp_denorm_src 0
		.amdhsa_exception_fp_ieee_div_zero 0
		.amdhsa_exception_fp_ieee_overflow 0
		.amdhsa_exception_fp_ieee_underflow 0
		.amdhsa_exception_fp_ieee_inexact 0
		.amdhsa_exception_int_div_zero 0
	.end_amdhsa_kernel
	.section	.text._ZL24rocblas_symm_hemm_kernelILb1ELb1ELi32EPK19rocblas_complex_numIdEPKS3_PKPS1_EvbiiT2_T3_lllSA_lllT4_llli,"axG",@progbits,_ZL24rocblas_symm_hemm_kernelILb1ELb1ELi32EPK19rocblas_complex_numIdEPKS3_PKPS1_EvbiiT2_T3_lllSA_lllT4_llli,comdat
.Lfunc_end61:
	.size	_ZL24rocblas_symm_hemm_kernelILb1ELb1ELi32EPK19rocblas_complex_numIdEPKS3_PKPS1_EvbiiT2_T3_lllSA_lllT4_llli, .Lfunc_end61-_ZL24rocblas_symm_hemm_kernelILb1ELb1ELi32EPK19rocblas_complex_numIdEPKS3_PKPS1_EvbiiT2_T3_lllSA_lllT4_llli
                                        ; -- End function
	.set _ZL24rocblas_symm_hemm_kernelILb1ELb1ELi32EPK19rocblas_complex_numIdEPKS3_PKPS1_EvbiiT2_T3_lllSA_lllT4_llli.num_vgpr, 62
	.set _ZL24rocblas_symm_hemm_kernelILb1ELb1ELi32EPK19rocblas_complex_numIdEPKS3_PKPS1_EvbiiT2_T3_lllSA_lllT4_llli.num_agpr, 0
	.set _ZL24rocblas_symm_hemm_kernelILb1ELb1ELi32EPK19rocblas_complex_numIdEPKS3_PKPS1_EvbiiT2_T3_lllSA_lllT4_llli.numbered_sgpr, 43
	.set _ZL24rocblas_symm_hemm_kernelILb1ELb1ELi32EPK19rocblas_complex_numIdEPKS3_PKPS1_EvbiiT2_T3_lllSA_lllT4_llli.num_named_barrier, 0
	.set _ZL24rocblas_symm_hemm_kernelILb1ELb1ELi32EPK19rocblas_complex_numIdEPKS3_PKPS1_EvbiiT2_T3_lllSA_lllT4_llli.private_seg_size, 0
	.set _ZL24rocblas_symm_hemm_kernelILb1ELb1ELi32EPK19rocblas_complex_numIdEPKS3_PKPS1_EvbiiT2_T3_lllSA_lllT4_llli.uses_vcc, 1
	.set _ZL24rocblas_symm_hemm_kernelILb1ELb1ELi32EPK19rocblas_complex_numIdEPKS3_PKPS1_EvbiiT2_T3_lllSA_lllT4_llli.uses_flat_scratch, 0
	.set _ZL24rocblas_symm_hemm_kernelILb1ELb1ELi32EPK19rocblas_complex_numIdEPKS3_PKPS1_EvbiiT2_T3_lllSA_lllT4_llli.has_dyn_sized_stack, 0
	.set _ZL24rocblas_symm_hemm_kernelILb1ELb1ELi32EPK19rocblas_complex_numIdEPKS3_PKPS1_EvbiiT2_T3_lllSA_lllT4_llli.has_recursion, 0
	.set _ZL24rocblas_symm_hemm_kernelILb1ELb1ELi32EPK19rocblas_complex_numIdEPKS3_PKPS1_EvbiiT2_T3_lllSA_lllT4_llli.has_indirect_call, 0
	.section	.AMDGPU.csdata,"",@progbits
; Kernel info:
; codeLenInByte = 1488
; TotalNumSgprs: 45
; NumVgprs: 62
; ScratchSize: 0
; MemoryBound: 1
; FloatMode: 240
; IeeeMode: 1
; LDSByteSize: 32768 bytes/workgroup (compile time only)
; SGPRBlocks: 0
; VGPRBlocks: 3
; NumSGPRsForWavesPerEU: 45
; NumVGPRsForWavesPerEU: 62
; NamedBarCnt: 0
; Occupancy: 16
; WaveLimiterHint : 1
; COMPUTE_PGM_RSRC2:SCRATCH_EN: 0
; COMPUTE_PGM_RSRC2:USER_SGPR: 2
; COMPUTE_PGM_RSRC2:TRAP_HANDLER: 0
; COMPUTE_PGM_RSRC2:TGID_X_EN: 1
; COMPUTE_PGM_RSRC2:TGID_Y_EN: 1
; COMPUTE_PGM_RSRC2:TGID_Z_EN: 1
; COMPUTE_PGM_RSRC2:TIDIG_COMP_CNT: 1
	.section	.text._ZL24rocblas_symm_hemm_kernelILb1ELb0ELi32E19rocblas_complex_numIdEPKPKS1_PKPS1_EvbiiT2_T3_lllSA_lllT4_llli,"axG",@progbits,_ZL24rocblas_symm_hemm_kernelILb1ELb0ELi32E19rocblas_complex_numIdEPKPKS1_PKPS1_EvbiiT2_T3_lllSA_lllT4_llli,comdat
	.globl	_ZL24rocblas_symm_hemm_kernelILb1ELb0ELi32E19rocblas_complex_numIdEPKPKS1_PKPS1_EvbiiT2_T3_lllSA_lllT4_llli ; -- Begin function _ZL24rocblas_symm_hemm_kernelILb1ELb0ELi32E19rocblas_complex_numIdEPKPKS1_PKPS1_EvbiiT2_T3_lllSA_lllT4_llli
	.p2align	8
	.type	_ZL24rocblas_symm_hemm_kernelILb1ELb0ELi32E19rocblas_complex_numIdEPKPKS1_PKPS1_EvbiiT2_T3_lllSA_lllT4_llli,@function
_ZL24rocblas_symm_hemm_kernelILb1ELb0ELi32E19rocblas_complex_numIdEPKPKS1_PKPS1_EvbiiT2_T3_lllSA_lllT4_llli: ; @_ZL24rocblas_symm_hemm_kernelILb1ELb0ELi32E19rocblas_complex_numIdEPKPKS1_PKPS1_EvbiiT2_T3_lllSA_lllT4_llli
; %bb.0:
	s_load_b256 s[4:11], s[0:1], 0x10
	s_wait_kmcnt 0x0
	v_cmp_eq_f64_e64 s2, s[4:5], 0
	v_cmp_eq_f64_e64 s3, s[6:7], 0
	s_and_b32 s2, s2, s3
	s_delay_alu instid0(SALU_CYCLE_1)
	s_and_b32 vcc_lo, exec_lo, s2
	s_cbranch_vccnz .LBB62_26
; %bb.1:
	s_load_b32 s23, s[0:1], 0x80
	s_bfe_u32 s2, ttmp6, 0x40014
	s_lshr_b32 s12, ttmp7, 16
	s_add_co_i32 s2, s2, 1
	s_bfe_u32 s13, ttmp6, 0x40008
	s_mul_i32 s2, s12, s2
	s_getreg_b32 s3, hwreg(HW_REG_IB_STS2, 6, 4)
	s_add_co_i32 s13, s13, s2
	s_cmp_eq_u32 s3, 0
	s_cselect_b32 s33, s12, s13
	s_wait_kmcnt 0x0
	s_cmp_ge_u32 s33, s23
	s_cbranch_scc1 .LBB62_26
; %bb.2:
	s_clause 0x1
	s_load_b96 s[20:22], s[0:1], 0x0
	s_load_b64 s[24:25], s[0:1], 0x30
	v_and_b32_e32 v28, 0x3ff, v0
	v_bfe_u32 v29, v0, 10, 10
	s_load_b64 s[28:29], s[0:1], 0x70
	s_delay_alu instid0(VALU_DEP_1) | instskip(NEXT) | instid1(VALU_DEP_1)
	v_dual_lshlrev_b32 v30, 9, v28 :: v_dual_lshlrev_b32 v0, 4, v29
	v_or_b32_e32 v31, 0x4000, v0
	s_delay_alu instid0(VALU_DEP_2)
	v_add_nc_u32_e32 v32, v30, v0
	s_wait_kmcnt 0x0
	s_bitcmp1_b32 s20, 0
	s_cselect_b32 s2, -1, 0
	s_add_co_i32 s12, s22, -1
	s_bfe_u32 s14, ttmp6, 0x4000c
	s_bfe_u32 s15, ttmp6, 0x40010
	s_ashr_i32 s17, s12, 31
	s_and_b32 s30, ttmp7, 0xffff
	s_add_co_i32 s14, s14, 1
	s_add_co_i32 s15, s15, 1
	s_lshr_b32 s17, s17, 27
	s_and_b32 s13, ttmp6, 15
	s_bfe_u32 s16, ttmp6, 0x40004
	s_mul_i32 s14, ttmp9, s14
	s_mul_i32 s15, s30, s15
	s_add_co_i32 s12, s12, s17
	s_add_co_i32 s13, s13, s14
	;; [unrolled: 1-line block ×3, first 2 shown]
	s_ashr_i32 s20, s12, 5
	s_cmp_eq_u32 s3, 0
	s_cselect_b32 s3, ttmp9, s13
	s_clause 0x2
	s_load_b128 s[12:15], s[0:1], 0x40
	s_load_b128 s[16:19], s[0:1], 0x60
	s_load_b64 s[26:27], s[0:1], 0x50
	v_lshl_add_u32 v8, s3, 5, v28
	s_cselect_b32 s36, s30, s31
	s_add_nc_u64 s[30:31], s[0:1], 0x88
	s_cmp_le_i32 s36, s20
	s_delay_alu instid0(VALU_DEP_1)
	v_ashrrev_i32_e32 v9, 31, v8
	v_cmp_gt_i32_e64 s3, s21, v8
	s_cselect_b32 s37, -1, 0
	s_cmp_gt_i32 s21, 0
	v_mul_u64_e32 v[2:3], s[24:25], v[8:9]
	v_lshlrev_b64_e32 v[10:11], 4, v[8:9]
	s_cselect_b32 s38, -1, 0
	s_lshl_b64 s[10:11], s[10:11], 4
	s_wait_kmcnt 0x0
	s_lshl_b64 s[14:15], s[14:15], 4
	s_lshl_b64 s[18:19], s[18:19], 4
	s_delay_alu instid0(VALU_DEP_2)
	v_lshlrev_b64_e32 v[12:13], 4, v[2:3]
	s_branch .LBB62_4
.LBB62_3:                               ;   in Loop: Header=BB62_4 Depth=1
	s_add_co_i32 s33, s33, 0x10000
	s_delay_alu instid0(SALU_CYCLE_1)
	s_cmp_lt_u32 s33, s23
	s_cbranch_scc0 .LBB62_26
.LBB62_4:                               ; =>This Loop Header: Depth=1
                                        ;     Child Loop BB62_7 Depth 2
                                        ;       Child Loop BB62_10 Depth 3
                                        ;         Child Loop BB62_24 Depth 4
	s_and_not1_b32 vcc_lo, exec_lo, s37
	s_cbranch_vccnz .LBB62_3
; %bb.5:                                ;   in Loop: Header=BB62_4 Depth=1
	s_load_b64 s[0:1], s[8:9], s33 offset:0x0 scale_offset
	s_load_b64 s[34:35], s[16:17], s33 offset:0x0 scale_offset
	;; [unrolled: 1-line block ×3, first 2 shown]
	s_load_b32 s39, s[30:31], 0x4
	s_wait_kmcnt 0x0
	s_add_nc_u64 s[0:1], s[0:1], s[10:11]
	s_add_nc_u64 s[34:35], s[34:35], s[18:19]
	v_add_nc_u64_e32 v[14:15], s[0:1], v[10:11]
	v_add_nc_u64_e32 v[16:17], s[0:1], v[12:13]
	;; [unrolled: 1-line block ×3, first 2 shown]
	s_add_nc_u64 s[34:35], s[40:41], s[14:15]
	s_mov_b32 s40, s36
	s_delay_alu instid0(VALU_DEP_3)
	v_add_nc_u64_e32 v[20:21], v[14:15], v[12:13]
	s_branch .LBB62_7
.LBB62_6:                               ;   in Loop: Header=BB62_7 Depth=2
	s_add_co_i32 s40, s40, s39
	s_delay_alu instid0(SALU_CYCLE_1)
	s_cmp_gt_i32 s40, s20
	s_cbranch_scc1 .LBB62_3
.LBB62_7:                               ;   Parent Loop BB62_4 Depth=1
                                        ; =>  This Loop Header: Depth=2
                                        ;       Child Loop BB62_10 Depth 3
                                        ;         Child Loop BB62_24 Depth 4
	s_and_not1_b32 vcc_lo, exec_lo, s38
	s_cbranch_vccnz .LBB62_6
; %bb.8:                                ;   in Loop: Header=BB62_7 Depth=2
	v_lshl_add_u32 v0, s40, 5, v29
	s_mov_b32 s42, 0
	s_delay_alu instid0(VALU_DEP_1) | instskip(SKIP_1) | instid1(VALU_DEP_2)
	v_ashrrev_i32_e32 v1, 31, v0
	v_cmp_gt_i32_e32 vcc_lo, s22, v0
	v_mul_u64_e32 v[2:3], s[26:27], v[0:1]
	v_mul_u64_e32 v[4:5], s[28:29], v[0:1]
	s_and_b32 s41, s3, vcc_lo
	s_delay_alu instid0(VALU_DEP_2) | instskip(NEXT) | instid1(VALU_DEP_2)
	v_lshl_add_u64 v[22:23], v[2:3], 4, s[34:35]
	v_lshl_add_u64 v[24:25], v[4:5], 4, v[18:19]
	s_branch .LBB62_10
.LBB62_9:                               ;   in Loop: Header=BB62_10 Depth=3
	s_wait_xcnt 0x0
	s_or_b32 exec_lo, exec_lo, s0
	s_add_co_i32 s42, s42, 32
	s_wait_storecnt_dscnt 0x0
	s_cmp_ge_i32 s42, s21
	s_barrier_signal -1
	s_barrier_wait -1
	s_cbranch_scc1 .LBB62_6
.LBB62_10:                              ;   Parent Loop BB62_4 Depth=1
                                        ;     Parent Loop BB62_7 Depth=2
                                        ; =>    This Loop Header: Depth=3
                                        ;         Child Loop BB62_24 Depth 4
	v_add_nc_u32_e32 v2, s42, v29
	v_mov_b64_e32 v[4:5], 0
	v_mov_b64_e32 v[6:7], 0
	s_mov_b32 s43, exec_lo
	s_delay_alu instid0(VALU_DEP_3) | instskip(NEXT) | instid1(VALU_DEP_1)
	v_dual_cndmask_b32 v3, v2, v8, s2 :: v_dual_cndmask_b32 v9, v8, v2, s2
	v_cmp_gt_i32_e64 s0, v3, v9
	s_delay_alu instid0(VALU_DEP_1) | instskip(SKIP_1) | instid1(VALU_DEP_2)
	v_dual_cndmask_b32 v0, v8, v2, s0 :: v_dual_cndmask_b32 v1, v2, v8, s0
	v_cmp_le_i32_e64 s0, v3, v9
	v_max_i32_e32 v26, v0, v1
	v_mov_b64_e32 v[0:1], 0
	s_delay_alu instid0(VALU_DEP_2)
	v_cmpx_gt_i32_e64 s21, v26
	s_cbranch_execz .LBB62_20
; %bb.11:                               ;   in Loop: Header=BB62_10 Depth=3
                                        ; implicit-def: $vgpr6_vgpr7
	s_and_saveexec_b32 s1, s0
	s_delay_alu instid0(SALU_CYCLE_1)
	s_xor_b32 s1, exec_lo, s1
	s_cbranch_execz .LBB62_17
; %bb.12:                               ;   in Loop: Header=BB62_10 Depth=3
	v_cmp_ne_u32_e64 s0, v8, v2
                                        ; implicit-def: $vgpr6_vgpr7
	s_and_saveexec_b32 s44, s0
	s_delay_alu instid0(SALU_CYCLE_1)
	s_xor_b32 s0, exec_lo, s44
	s_cbranch_execz .LBB62_14
; %bb.13:                               ;   in Loop: Header=BB62_10 Depth=3
	v_ashrrev_i32_e32 v3, 31, v2
	s_delay_alu instid0(VALU_DEP_1) | instskip(NEXT) | instid1(VALU_DEP_1)
	v_mul_u64_e32 v[2:3], s[24:25], v[2:3]
	v_lshl_add_u64 v[2:3], v[2:3], 4, v[14:15]
	flat_load_b128 v[4:7], v[2:3]
.LBB62_14:                              ;   in Loop: Header=BB62_10 Depth=3
	s_wait_xcnt 0x0
	s_and_not1_saveexec_b32 s0, s0
	s_cbranch_execz .LBB62_16
; %bb.15:                               ;   in Loop: Header=BB62_10 Depth=3
	s_wait_loadcnt_dscnt 0x0
	flat_load_b64 v[4:5], v[20:21]
	v_mov_b64_e32 v[6:7], 0
.LBB62_16:                              ;   in Loop: Header=BB62_10 Depth=3
	s_wait_xcnt 0x0
	s_or_b32 exec_lo, exec_lo, s0
                                        ; implicit-def: $vgpr2
.LBB62_17:                              ;   in Loop: Header=BB62_10 Depth=3
	s_and_not1_saveexec_b32 s0, s1
	s_cbranch_execz .LBB62_19
; %bb.18:                               ;   in Loop: Header=BB62_10 Depth=3
	v_ashrrev_i32_e32 v3, 31, v2
	s_delay_alu instid0(VALU_DEP_1)
	v_lshl_add_u64 v[2:3], v[2:3], 4, v[16:17]
	s_wait_loadcnt_dscnt 0x0
	flat_load_b128 v[4:7], v[2:3]
	s_wait_loadcnt_dscnt 0x0
	v_xor_b32_e32 v7, 0x80000000, v7
.LBB62_19:                              ;   in Loop: Header=BB62_10 Depth=3
	s_or_b32 exec_lo, exec_lo, s0
.LBB62_20:                              ;   in Loop: Header=BB62_10 Depth=3
	s_delay_alu instid0(SALU_CYCLE_1)
	s_or_b32 exec_lo, exec_lo, s43
	v_add_nc_u32_e32 v26, s42, v28
	v_mov_b64_e32 v[2:3], 0
	s_wait_loadcnt_dscnt 0x0
	ds_store_b128 v32, v[4:7]
	v_cmp_gt_i32_e64 s0, s21, v26
	s_and_b32 s1, s0, vcc_lo
	s_delay_alu instid0(SALU_CYCLE_1)
	s_and_saveexec_b32 s0, s1
	s_cbranch_execz .LBB62_22
; %bb.21:                               ;   in Loop: Header=BB62_10 Depth=3
	v_ashrrev_i32_e32 v27, 31, v26
	s_delay_alu instid0(VALU_DEP_1)
	v_lshl_add_u64 v[0:1], v[26:27], 4, v[22:23]
	flat_load_b128 v[0:3], v[0:1]
.LBB62_22:                              ;   in Loop: Header=BB62_10 Depth=3
	s_wait_xcnt 0x0
	s_or_b32 exec_lo, exec_lo, s0
	v_add_nc_u32_e32 v4, v31, v30
	s_wait_loadcnt_dscnt 0x0
	ds_store_b128 v4, v[0:3]
	s_wait_dscnt 0x0
	s_barrier_signal -1
	s_barrier_wait -1
	s_and_saveexec_b32 s0, s41
	s_cbranch_execz .LBB62_9
; %bb.23:                               ;   in Loop: Header=BB62_10 Depth=3
	v_mov_b64_e32 v[0:1], 0
	v_mov_b64_e32 v[2:3], 0
	v_mov_b32_e32 v4, v31
	s_mov_b32 s1, 0
.LBB62_24:                              ;   Parent Loop BB62_4 Depth=1
                                        ;     Parent Loop BB62_7 Depth=2
                                        ;       Parent Loop BB62_10 Depth=3
                                        ; =>      This Inner Loop Header: Depth=4
	s_delay_alu instid0(SALU_CYCLE_1)
	v_add_nc_u32_e32 v5, s1, v30
	s_addk_co_i32 s1, 0x80
	ds_load_b128 v[34:37], v4
	ds_load_b128 v[38:41], v5
	ds_load_b128 v[42:45], v4 offset:512
	ds_load_b128 v[46:49], v5 offset:16
	s_cmp_eq_u32 s1, 0x200
	s_wait_dscnt 0x2
	v_mul_f64_e32 v[6:7], v[36:37], v[40:41]
	v_mul_f64_e32 v[26:27], v[34:35], v[40:41]
	s_wait_dscnt 0x0
	v_mul_f64_e32 v[56:57], v[44:45], v[48:49]
	v_mul_f64_e32 v[58:59], v[42:43], v[48:49]
	s_delay_alu instid0(VALU_DEP_4) | instskip(NEXT) | instid1(VALU_DEP_4)
	v_fma_f64 v[6:7], v[34:35], v[38:39], -v[6:7]
	v_fmac_f64_e32 v[26:27], v[36:37], v[38:39]
	ds_load_b128 v[34:37], v4 offset:1024
	ds_load_b128 v[38:41], v5 offset:32
	;; [unrolled: 1-line block ×4, first 2 shown]
	v_fmac_f64_e32 v[58:59], v[44:45], v[46:47]
	s_wait_dscnt 0x2
	v_mul_f64_e32 v[60:61], v[36:37], v[40:41]
	v_mul_f64_e32 v[62:63], v[34:35], v[40:41]
	v_fma_f64 v[40:41], v[42:43], v[46:47], -v[56:57]
	v_add_f64_e32 v[0:1], v[0:1], v[6:7]
	v_add_f64_e32 v[2:3], v[2:3], v[26:27]
	s_wait_dscnt 0x0
	v_mul_f64_e32 v[6:7], v[50:51], v[54:55]
	v_mul_f64_e32 v[26:27], v[48:49], v[54:55]
	v_fma_f64 v[46:47], v[34:35], v[38:39], -v[60:61]
	v_fmac_f64_e32 v[62:63], v[36:37], v[38:39]
	v_add_f64_e32 v[54:55], v[0:1], v[40:41]
	v_add_f64_e32 v[56:57], v[2:3], v[58:59]
	ds_load_b128 v[0:3], v4 offset:2048
	ds_load_b128 v[34:37], v5 offset:64
	;; [unrolled: 1-line block ×4, first 2 shown]
	v_fma_f64 v[6:7], v[48:49], v[52:53], -v[6:7]
	v_fmac_f64_e32 v[26:27], v[50:51], v[52:53]
	s_wait_dscnt 0x2
	v_mul_f64_e32 v[58:59], v[2:3], v[36:37]
	v_mul_f64_e32 v[60:61], v[0:1], v[36:37]
	s_wait_dscnt 0x0
	v_mul_f64_e32 v[52:53], v[40:41], v[44:45]
	v_add_f64_e32 v[36:37], v[54:55], v[46:47]
	v_add_f64_e32 v[46:47], v[56:57], v[62:63]
	v_mul_f64_e32 v[54:55], v[38:39], v[44:45]
	v_fma_f64 v[56:57], v[0:1], v[34:35], -v[58:59]
	v_fmac_f64_e32 v[60:61], v[2:3], v[34:35]
	v_fma_f64 v[38:39], v[38:39], v[42:43], -v[52:53]
	v_add_f64_e32 v[6:7], v[36:37], v[6:7]
	v_add_f64_e32 v[26:27], v[46:47], v[26:27]
	ds_load_b128 v[0:3], v4 offset:3072
	ds_load_b128 v[34:37], v5 offset:96
	;; [unrolled: 1-line block ×4, first 2 shown]
	v_fmac_f64_e32 v[54:55], v[40:41], v[42:43]
	v_add_nc_u32_e32 v4, 0x1000, v4
	s_wait_dscnt 0x2
	v_mul_f64_e32 v[58:59], v[2:3], v[36:37]
	v_mul_f64_e32 v[36:37], v[0:1], v[36:37]
	s_wait_dscnt 0x0
	v_mul_f64_e32 v[40:41], v[46:47], v[50:51]
	v_mul_f64_e32 v[42:43], v[44:45], v[50:51]
	v_add_f64_e32 v[6:7], v[6:7], v[56:57]
	v_add_f64_e32 v[26:27], v[26:27], v[60:61]
	v_fma_f64 v[0:1], v[0:1], v[34:35], -v[58:59]
	v_fmac_f64_e32 v[36:37], v[2:3], v[34:35]
	v_fmac_f64_e32 v[42:43], v[46:47], v[48:49]
	v_add_f64_e32 v[2:3], v[6:7], v[38:39]
	v_add_f64_e32 v[6:7], v[26:27], v[54:55]
	v_fma_f64 v[26:27], v[44:45], v[48:49], -v[40:41]
	s_delay_alu instid0(VALU_DEP_3) | instskip(NEXT) | instid1(VALU_DEP_3)
	v_add_f64_e32 v[0:1], v[2:3], v[0:1]
	v_add_f64_e32 v[2:3], v[6:7], v[36:37]
	s_delay_alu instid0(VALU_DEP_2) | instskip(NEXT) | instid1(VALU_DEP_2)
	v_add_f64_e32 v[0:1], v[0:1], v[26:27]
	v_add_f64_e32 v[2:3], v[2:3], v[42:43]
	s_cbranch_scc0 .LBB62_24
; %bb.25:                               ;   in Loop: Header=BB62_10 Depth=3
	flat_load_b128 v[4:7], v[24:25]
	v_mul_f64_e32 v[26:27], s[6:7], v[2:3]
	v_mul_f64_e32 v[34:35], s[6:7], v[0:1]
	s_delay_alu instid0(VALU_DEP_2) | instskip(NEXT) | instid1(VALU_DEP_2)
	v_fma_f64 v[0:1], s[4:5], v[0:1], -v[26:27]
	v_fmac_f64_e32 v[34:35], s[4:5], v[2:3]
	s_wait_loadcnt_dscnt 0x0
	s_delay_alu instid0(VALU_DEP_2) | instskip(NEXT) | instid1(VALU_DEP_2)
	v_add_f64_e32 v[0:1], v[0:1], v[4:5]
	v_add_f64_e32 v[2:3], v[34:35], v[6:7]
	flat_store_b128 v[24:25], v[0:3]
	s_branch .LBB62_9
.LBB62_26:
	s_endpgm
	.section	.rodata,"a",@progbits
	.p2align	6, 0x0
	.amdhsa_kernel _ZL24rocblas_symm_hemm_kernelILb1ELb0ELi32E19rocblas_complex_numIdEPKPKS1_PKPS1_EvbiiT2_T3_lllSA_lllT4_llli
		.amdhsa_group_segment_fixed_size 32768
		.amdhsa_private_segment_fixed_size 0
		.amdhsa_kernarg_size 392
		.amdhsa_user_sgpr_count 2
		.amdhsa_user_sgpr_dispatch_ptr 0
		.amdhsa_user_sgpr_queue_ptr 0
		.amdhsa_user_sgpr_kernarg_segment_ptr 1
		.amdhsa_user_sgpr_dispatch_id 0
		.amdhsa_user_sgpr_kernarg_preload_length 0
		.amdhsa_user_sgpr_kernarg_preload_offset 0
		.amdhsa_user_sgpr_private_segment_size 0
		.amdhsa_wavefront_size32 1
		.amdhsa_uses_dynamic_stack 0
		.amdhsa_enable_private_segment 0
		.amdhsa_system_sgpr_workgroup_id_x 1
		.amdhsa_system_sgpr_workgroup_id_y 1
		.amdhsa_system_sgpr_workgroup_id_z 1
		.amdhsa_system_sgpr_workgroup_info 0
		.amdhsa_system_vgpr_workitem_id 1
		.amdhsa_next_free_vgpr 64
		.amdhsa_next_free_sgpr 45
		.amdhsa_named_barrier_count 0
		.amdhsa_reserve_vcc 1
		.amdhsa_float_round_mode_32 0
		.amdhsa_float_round_mode_16_64 0
		.amdhsa_float_denorm_mode_32 3
		.amdhsa_float_denorm_mode_16_64 3
		.amdhsa_fp16_overflow 0
		.amdhsa_memory_ordered 1
		.amdhsa_forward_progress 1
		.amdhsa_inst_pref_size 12
		.amdhsa_round_robin_scheduling 0
		.amdhsa_exception_fp_ieee_invalid_op 0
		.amdhsa_exception_fp_denorm_src 0
		.amdhsa_exception_fp_ieee_div_zero 0
		.amdhsa_exception_fp_ieee_overflow 0
		.amdhsa_exception_fp_ieee_underflow 0
		.amdhsa_exception_fp_ieee_inexact 0
		.amdhsa_exception_int_div_zero 0
	.end_amdhsa_kernel
	.section	.text._ZL24rocblas_symm_hemm_kernelILb1ELb0ELi32E19rocblas_complex_numIdEPKPKS1_PKPS1_EvbiiT2_T3_lllSA_lllT4_llli,"axG",@progbits,_ZL24rocblas_symm_hemm_kernelILb1ELb0ELi32E19rocblas_complex_numIdEPKPKS1_PKPS1_EvbiiT2_T3_lllSA_lllT4_llli,comdat
.Lfunc_end62:
	.size	_ZL24rocblas_symm_hemm_kernelILb1ELb0ELi32E19rocblas_complex_numIdEPKPKS1_PKPS1_EvbiiT2_T3_lllSA_lllT4_llli, .Lfunc_end62-_ZL24rocblas_symm_hemm_kernelILb1ELb0ELi32E19rocblas_complex_numIdEPKPKS1_PKPS1_EvbiiT2_T3_lllSA_lllT4_llli
                                        ; -- End function
	.set _ZL24rocblas_symm_hemm_kernelILb1ELb0ELi32E19rocblas_complex_numIdEPKPKS1_PKPS1_EvbiiT2_T3_lllSA_lllT4_llli.num_vgpr, 64
	.set _ZL24rocblas_symm_hemm_kernelILb1ELb0ELi32E19rocblas_complex_numIdEPKPKS1_PKPS1_EvbiiT2_T3_lllSA_lllT4_llli.num_agpr, 0
	.set _ZL24rocblas_symm_hemm_kernelILb1ELb0ELi32E19rocblas_complex_numIdEPKPKS1_PKPS1_EvbiiT2_T3_lllSA_lllT4_llli.numbered_sgpr, 45
	.set _ZL24rocblas_symm_hemm_kernelILb1ELb0ELi32E19rocblas_complex_numIdEPKPKS1_PKPS1_EvbiiT2_T3_lllSA_lllT4_llli.num_named_barrier, 0
	.set _ZL24rocblas_symm_hemm_kernelILb1ELb0ELi32E19rocblas_complex_numIdEPKPKS1_PKPS1_EvbiiT2_T3_lllSA_lllT4_llli.private_seg_size, 0
	.set _ZL24rocblas_symm_hemm_kernelILb1ELb0ELi32E19rocblas_complex_numIdEPKPKS1_PKPS1_EvbiiT2_T3_lllSA_lllT4_llli.uses_vcc, 1
	.set _ZL24rocblas_symm_hemm_kernelILb1ELb0ELi32E19rocblas_complex_numIdEPKPKS1_PKPS1_EvbiiT2_T3_lllSA_lllT4_llli.uses_flat_scratch, 0
	.set _ZL24rocblas_symm_hemm_kernelILb1ELb0ELi32E19rocblas_complex_numIdEPKPKS1_PKPS1_EvbiiT2_T3_lllSA_lllT4_llli.has_dyn_sized_stack, 0
	.set _ZL24rocblas_symm_hemm_kernelILb1ELb0ELi32E19rocblas_complex_numIdEPKPKS1_PKPS1_EvbiiT2_T3_lllSA_lllT4_llli.has_recursion, 0
	.set _ZL24rocblas_symm_hemm_kernelILb1ELb0ELi32E19rocblas_complex_numIdEPKPKS1_PKPS1_EvbiiT2_T3_lllSA_lllT4_llli.has_indirect_call, 0
	.section	.AMDGPU.csdata,"",@progbits
; Kernel info:
; codeLenInByte = 1516
; TotalNumSgprs: 47
; NumVgprs: 64
; ScratchSize: 0
; MemoryBound: 1
; FloatMode: 240
; IeeeMode: 1
; LDSByteSize: 32768 bytes/workgroup (compile time only)
; SGPRBlocks: 0
; VGPRBlocks: 3
; NumSGPRsForWavesPerEU: 47
; NumVGPRsForWavesPerEU: 64
; NamedBarCnt: 0
; Occupancy: 16
; WaveLimiterHint : 1
; COMPUTE_PGM_RSRC2:SCRATCH_EN: 0
; COMPUTE_PGM_RSRC2:USER_SGPR: 2
; COMPUTE_PGM_RSRC2:TRAP_HANDLER: 0
; COMPUTE_PGM_RSRC2:TGID_X_EN: 1
; COMPUTE_PGM_RSRC2:TGID_Y_EN: 1
; COMPUTE_PGM_RSRC2:TGID_Z_EN: 1
; COMPUTE_PGM_RSRC2:TIDIG_COMP_CNT: 1
	.section	.text._ZL24rocblas_symm_hemm_kernelILb1ELb1ELi32E19rocblas_complex_numIdEPKPKS1_PKPS1_EvbiiT2_T3_lllSA_lllT4_llli,"axG",@progbits,_ZL24rocblas_symm_hemm_kernelILb1ELb1ELi32E19rocblas_complex_numIdEPKPKS1_PKPS1_EvbiiT2_T3_lllSA_lllT4_llli,comdat
	.globl	_ZL24rocblas_symm_hemm_kernelILb1ELb1ELi32E19rocblas_complex_numIdEPKPKS1_PKPS1_EvbiiT2_T3_lllSA_lllT4_llli ; -- Begin function _ZL24rocblas_symm_hemm_kernelILb1ELb1ELi32E19rocblas_complex_numIdEPKPKS1_PKPS1_EvbiiT2_T3_lllSA_lllT4_llli
	.p2align	8
	.type	_ZL24rocblas_symm_hemm_kernelILb1ELb1ELi32E19rocblas_complex_numIdEPKPKS1_PKPS1_EvbiiT2_T3_lllSA_lllT4_llli,@function
_ZL24rocblas_symm_hemm_kernelILb1ELb1ELi32E19rocblas_complex_numIdEPKPKS1_PKPS1_EvbiiT2_T3_lllSA_lllT4_llli: ; @_ZL24rocblas_symm_hemm_kernelILb1ELb1ELi32E19rocblas_complex_numIdEPKPKS1_PKPS1_EvbiiT2_T3_lllSA_lllT4_llli
; %bb.0:
	s_load_b256 s[4:11], s[0:1], 0x10
	s_wait_kmcnt 0x0
	v_cmp_eq_f64_e64 s2, s[4:5], 0
	v_cmp_eq_f64_e64 s3, s[6:7], 0
	s_and_b32 s2, s2, s3
	s_delay_alu instid0(SALU_CYCLE_1)
	s_and_b32 vcc_lo, exec_lo, s2
	s_cbranch_vccnz .LBB63_26
; %bb.1:
	s_load_b32 s23, s[0:1], 0x80
	s_bfe_u32 s2, ttmp6, 0x40014
	s_lshr_b32 s12, ttmp7, 16
	s_add_co_i32 s2, s2, 1
	s_bfe_u32 s13, ttmp6, 0x40008
	s_mul_i32 s2, s12, s2
	s_getreg_b32 s3, hwreg(HW_REG_IB_STS2, 6, 4)
	s_add_co_i32 s13, s13, s2
	s_cmp_eq_u32 s3, 0
	s_cselect_b32 s33, s12, s13
	s_wait_kmcnt 0x0
	s_cmp_ge_u32 s33, s23
	s_cbranch_scc1 .LBB63_26
; %bb.2:
	s_clause 0x3
	s_load_b96 s[20:22], s[0:1], 0x0
	s_load_b64 s[24:25], s[0:1], 0x30
	s_load_b64 s[26:27], s[0:1], 0x50
	s_load_b128 s[12:15], s[0:1], 0x40
	v_and_b32_e32 v26, 0x3ff, v0
	s_clause 0x1
	s_load_b64 s[28:29], s[0:1], 0x70
	s_load_b128 s[16:19], s[0:1], 0x60
	v_bfe_u32 v27, v0, 10, 10
	s_delay_alu instid0(VALU_DEP_1) | instskip(NEXT) | instid1(VALU_DEP_1)
	v_dual_lshlrev_b32 v28, 9, v26 :: v_dual_lshlrev_b32 v2, 4, v27
	v_or_b32_e32 v29, 0x4000, v2
	s_delay_alu instid0(VALU_DEP_2) | instskip(SKIP_2) | instid1(VALU_DEP_2)
	v_add_nc_u32_e32 v30, v28, v2
	s_wait_kmcnt 0x0
	s_bitcmp1_b32 s20, 0
	v_add_nc_u32_e32 v31, v29, v28
	s_cselect_b32 s2, -1, 0
	s_add_co_i32 s20, s22, -1
	s_bfe_u32 s31, ttmp6, 0x4000c
	s_bfe_u32 s34, ttmp6, 0x40010
	s_ashr_i32 s37, s20, 31
	s_and_b32 s35, ttmp7, 0xffff
	s_add_co_i32 s31, s31, 1
	s_add_co_i32 s34, s34, 1
	s_lshr_b32 s37, s37, 27
	s_and_b32 s30, ttmp6, 15
	s_bfe_u32 s36, ttmp6, 0x40004
	s_mul_i32 s31, ttmp9, s31
	s_mul_i32 s34, s35, s34
	s_add_co_i32 s20, s20, s37
	s_add_co_i32 s30, s30, s31
	;; [unrolled: 1-line block ×3, first 2 shown]
	s_ashr_i32 s34, s20, 5
	s_cmp_eq_u32 s3, 0
	s_cselect_b32 s3, ttmp9, s30
	s_cselect_b32 s35, s35, s36
	v_lshl_add_u32 v0, s3, 5, v26
	s_cmp_le_i32 s35, s34
	s_cselect_b32 s36, -1, 0
	s_cmp_gt_i32 s22, 0
	s_delay_alu instid0(VALU_DEP_1)
	v_ashrrev_i32_e32 v1, 31, v0
	v_cmp_gt_i32_e64 s3, s21, v0
	s_add_nc_u64 s[20:21], s[0:1], 0x88
	s_cselect_b32 s1, -1, 0
	s_lshl_b64 s[10:11], s[10:11], 4
	v_lshlrev_b64_e32 v[8:9], 4, v[0:1]
	s_lshl_b64 s[18:19], s[18:19], 4
	s_lshl_b64 s[14:15], s[14:15], 4
	s_branch .LBB63_4
.LBB63_3:                               ;   in Loop: Header=BB63_4 Depth=1
	s_add_co_i32 s33, s33, 0x10000
	s_delay_alu instid0(SALU_CYCLE_1)
	s_cmp_lt_u32 s33, s23
	s_cbranch_scc0 .LBB63_26
.LBB63_4:                               ; =>This Loop Header: Depth=1
                                        ;     Child Loop BB63_7 Depth 2
                                        ;       Child Loop BB63_10 Depth 3
                                        ;         Child Loop BB63_24 Depth 4
	s_and_not1_b32 vcc_lo, exec_lo, s36
	s_cbranch_vccnz .LBB63_3
; %bb.5:                                ;   in Loop: Header=BB63_4 Depth=1
	s_load_b64 s[30:31], s[12:13], s33 offset:0x0 scale_offset
	s_load_b64 s[38:39], s[16:17], s33 offset:0x0 scale_offset
	;; [unrolled: 1-line block ×3, first 2 shown]
	s_load_b32 s37, s[20:21], 0x4
	s_wait_kmcnt 0x0
	s_add_nc_u64 s[30:31], s[30:31], s[14:15]
	s_add_nc_u64 s[38:39], s[38:39], s[18:19]
	v_add_nc_u64_e32 v[10:11], s[30:31], v[8:9]
	v_add_nc_u64_e32 v[12:13], s[38:39], v[8:9]
	s_add_nc_u64 s[30:31], s[40:41], s[10:11]
	s_mov_b32 s38, s35
	s_branch .LBB63_7
.LBB63_6:                               ;   in Loop: Header=BB63_7 Depth=2
	s_add_co_i32 s38, s38, s37
	s_delay_alu instid0(SALU_CYCLE_1)
	s_cmp_gt_i32 s38, s34
	s_cbranch_scc1 .LBB63_3
.LBB63_7:                               ;   Parent Loop BB63_4 Depth=1
                                        ; =>  This Loop Header: Depth=2
                                        ;       Child Loop BB63_10 Depth 3
                                        ;         Child Loop BB63_24 Depth 4
	s_and_not1_b32 vcc_lo, exec_lo, s1
	s_cbranch_vccnz .LBB63_6
; %bb.8:                                ;   in Loop: Header=BB63_7 Depth=2
	v_lshl_add_u32 v14, s38, 5, v27
	s_mov_b32 s40, 0
	s_delay_alu instid0(VALU_DEP_1) | instskip(SKIP_1) | instid1(VALU_DEP_2)
	v_ashrrev_i32_e32 v15, 31, v14
	v_cmp_gt_i32_e32 vcc_lo, s22, v14
	v_mul_u64_e32 v[0:1], s[24:25], v[14:15]
	v_mul_u64_e32 v[2:3], s[28:29], v[14:15]
	v_lshlrev_b64_e32 v[4:5], 4, v[14:15]
	s_and_b32 s39, s3, vcc_lo
	s_delay_alu instid0(VALU_DEP_1) | instskip(NEXT) | instid1(VALU_DEP_4)
	v_add_nc_u64_e32 v[18:19], s[30:31], v[4:5]
	v_lshl_add_u64 v[16:17], v[0:1], 4, s[30:31]
	s_delay_alu instid0(VALU_DEP_4) | instskip(NEXT) | instid1(VALU_DEP_2)
	v_lshl_add_u64 v[22:23], v[2:3], 4, v[12:13]
	v_add_nc_u64_e32 v[20:21], v[16:17], v[4:5]
	s_branch .LBB63_10
.LBB63_9:                               ;   in Loop: Header=BB63_10 Depth=3
	s_wait_xcnt 0x0
	s_or_b32 exec_lo, exec_lo, s0
	s_add_co_i32 s40, s40, 32
	s_wait_storecnt_dscnt 0x0
	s_cmp_ge_i32 s40, s22
	s_barrier_signal -1
	s_barrier_wait -1
	s_cbranch_scc1 .LBB63_6
.LBB63_10:                              ;   Parent Loop BB63_4 Depth=1
                                        ;     Parent Loop BB63_7 Depth=2
                                        ; =>    This Loop Header: Depth=3
                                        ;         Child Loop BB63_24 Depth 4
	v_add_nc_u32_e32 v2, s40, v27
	v_mov_b64_e32 v[0:1], 0
	v_mov_b64_e32 v[4:5], 0
	;; [unrolled: 1-line block ×3, first 2 shown]
	s_delay_alu instid0(VALU_DEP_4) | instskip(SKIP_1) | instid1(SALU_CYCLE_1)
	v_cmp_gt_i32_e32 vcc_lo, s22, v2
	s_and_b32 s41, s3, vcc_lo
	s_and_saveexec_b32 s0, s41
	s_cbranch_execz .LBB63_12
; %bb.11:                               ;   in Loop: Header=BB63_10 Depth=3
	v_ashrrev_i32_e32 v3, 31, v2
	s_delay_alu instid0(VALU_DEP_1) | instskip(NEXT) | instid1(VALU_DEP_1)
	v_mul_u64_e32 v[2:3], s[26:27], v[2:3]
	v_lshl_add_u64 v[2:3], v[2:3], 4, v[10:11]
	flat_load_b128 v[4:7], v[2:3]
.LBB63_12:                              ;   in Loop: Header=BB63_10 Depth=3
	s_wait_xcnt 0x0
	s_or_b32 exec_lo, exec_lo, s0
	v_add_nc_u32_e32 v24, s40, v26
	s_mov_b32 s41, exec_lo
	s_wait_loadcnt_dscnt 0x0
	ds_store_b128 v30, v[4:7]
	v_dual_cndmask_b32 v15, v14, v24, s2 :: v_dual_cndmask_b32 v25, v24, v14, s2
	s_delay_alu instid0(VALU_DEP_1) | instskip(SKIP_2) | instid1(VALU_DEP_2)
	v_cmp_gt_i32_e32 vcc_lo, v15, v25
	v_dual_cndmask_b32 v2, v24, v14 :: v_dual_cndmask_b32 v3, v14, v24
	v_cmp_le_i32_e32 vcc_lo, v15, v25
	v_max_i32_e32 v32, v2, v3
	v_mov_b64_e32 v[2:3], 0
	s_delay_alu instid0(VALU_DEP_2)
	v_cmpx_gt_i32_e64 s22, v32
	s_cbranch_execz .LBB63_22
; %bb.13:                               ;   in Loop: Header=BB63_10 Depth=3
                                        ; implicit-def: $vgpr2_vgpr3
	s_and_saveexec_b32 s0, vcc_lo
	s_delay_alu instid0(SALU_CYCLE_1)
	s_xor_b32 s0, exec_lo, s0
	s_cbranch_execz .LBB63_19
; %bb.14:                               ;   in Loop: Header=BB63_10 Depth=3
	s_mov_b32 s42, exec_lo
                                        ; implicit-def: $vgpr2_vgpr3
	v_cmpx_ne_u32_e64 v24, v14
	s_xor_b32 s42, exec_lo, s42
	s_cbranch_execz .LBB63_16
; %bb.15:                               ;   in Loop: Header=BB63_10 Depth=3
	v_ashrrev_i32_e32 v25, 31, v24
	s_delay_alu instid0(VALU_DEP_1)
	v_lshl_add_u64 v[0:1], v[24:25], 4, v[16:17]
	flat_load_b128 v[0:3], v[0:1]
.LBB63_16:                              ;   in Loop: Header=BB63_10 Depth=3
	s_wait_xcnt 0x0
	s_and_not1_saveexec_b32 s42, s42
	s_cbranch_execz .LBB63_18
; %bb.17:                               ;   in Loop: Header=BB63_10 Depth=3
	s_wait_loadcnt_dscnt 0x0
	flat_load_b64 v[0:1], v[20:21]
	v_mov_b64_e32 v[2:3], 0
.LBB63_18:                              ;   in Loop: Header=BB63_10 Depth=3
	s_wait_xcnt 0x0
	s_or_b32 exec_lo, exec_lo, s42
                                        ; implicit-def: $vgpr24
.LBB63_19:                              ;   in Loop: Header=BB63_10 Depth=3
	s_and_not1_saveexec_b32 s0, s0
	s_cbranch_execz .LBB63_21
; %bb.20:                               ;   in Loop: Header=BB63_10 Depth=3
	v_ashrrev_i32_e32 v25, 31, v24
	s_wait_loadcnt_dscnt 0x0
	s_delay_alu instid0(VALU_DEP_1) | instskip(NEXT) | instid1(VALU_DEP_1)
	v_mul_u64_e32 v[0:1], s[24:25], v[24:25]
	v_lshl_add_u64 v[0:1], v[0:1], 4, v[18:19]
	flat_load_b128 v[0:3], v[0:1]
	s_wait_loadcnt_dscnt 0x0
	v_xor_b32_e32 v3, 0x80000000, v3
.LBB63_21:                              ;   in Loop: Header=BB63_10 Depth=3
	s_or_b32 exec_lo, exec_lo, s0
.LBB63_22:                              ;   in Loop: Header=BB63_10 Depth=3
	s_delay_alu instid0(SALU_CYCLE_1)
	s_or_b32 exec_lo, exec_lo, s41
	s_wait_loadcnt_dscnt 0x0
	ds_store_b128 v31, v[0:3]
	s_wait_dscnt 0x0
	s_barrier_signal -1
	s_barrier_wait -1
	s_and_saveexec_b32 s0, s39
	s_cbranch_execz .LBB63_9
; %bb.23:                               ;   in Loop: Header=BB63_10 Depth=3
	v_mov_b64_e32 v[0:1], 0
	v_mov_b64_e32 v[2:3], 0
	v_mov_b32_e32 v4, v29
	s_mov_b32 s41, 0
.LBB63_24:                              ;   Parent Loop BB63_4 Depth=1
                                        ;     Parent Loop BB63_7 Depth=2
                                        ;       Parent Loop BB63_10 Depth=3
                                        ; =>      This Inner Loop Header: Depth=4
	s_delay_alu instid0(SALU_CYCLE_1)
	v_add_nc_u32_e32 v5, s41, v28
	s_addk_co_i32 s41, 0x80
	ds_load_b128 v[32:35], v4
	ds_load_b128 v[36:39], v5
	ds_load_b128 v[40:43], v4 offset:512
	ds_load_b128 v[44:47], v5 offset:16
	s_cmp_eq_u32 s41, 0x200
	s_wait_dscnt 0x2
	v_mul_f64_e32 v[6:7], v[34:35], v[38:39]
	v_mul_f64_e32 v[24:25], v[32:33], v[38:39]
	s_wait_dscnt 0x0
	v_mul_f64_e32 v[54:55], v[42:43], v[46:47]
	v_mul_f64_e32 v[56:57], v[40:41], v[46:47]
	s_delay_alu instid0(VALU_DEP_4) | instskip(NEXT) | instid1(VALU_DEP_4)
	v_fma_f64 v[6:7], v[32:33], v[36:37], -v[6:7]
	v_fmac_f64_e32 v[24:25], v[34:35], v[36:37]
	ds_load_b128 v[32:35], v4 offset:1024
	ds_load_b128 v[36:39], v5 offset:32
	;; [unrolled: 1-line block ×4, first 2 shown]
	v_fmac_f64_e32 v[56:57], v[42:43], v[44:45]
	s_wait_dscnt 0x2
	v_mul_f64_e32 v[58:59], v[34:35], v[38:39]
	v_mul_f64_e32 v[60:61], v[32:33], v[38:39]
	v_fma_f64 v[38:39], v[40:41], v[44:45], -v[54:55]
	v_add_f64_e32 v[0:1], v[0:1], v[6:7]
	v_add_f64_e32 v[2:3], v[2:3], v[24:25]
	s_wait_dscnt 0x0
	v_mul_f64_e32 v[6:7], v[48:49], v[52:53]
	v_mul_f64_e32 v[24:25], v[46:47], v[52:53]
	v_fma_f64 v[44:45], v[32:33], v[36:37], -v[58:59]
	v_fmac_f64_e32 v[60:61], v[34:35], v[36:37]
	v_add_f64_e32 v[52:53], v[0:1], v[38:39]
	v_add_f64_e32 v[54:55], v[2:3], v[56:57]
	ds_load_b128 v[0:3], v4 offset:2048
	ds_load_b128 v[32:35], v5 offset:64
	;; [unrolled: 1-line block ×4, first 2 shown]
	v_fma_f64 v[6:7], v[46:47], v[50:51], -v[6:7]
	v_fmac_f64_e32 v[24:25], v[48:49], v[50:51]
	s_wait_dscnt 0x2
	v_mul_f64_e32 v[56:57], v[2:3], v[34:35]
	v_mul_f64_e32 v[58:59], v[0:1], v[34:35]
	s_wait_dscnt 0x0
	v_mul_f64_e32 v[50:51], v[38:39], v[42:43]
	v_add_f64_e32 v[34:35], v[52:53], v[44:45]
	v_add_f64_e32 v[44:45], v[54:55], v[60:61]
	v_mul_f64_e32 v[52:53], v[36:37], v[42:43]
	v_fma_f64 v[54:55], v[0:1], v[32:33], -v[56:57]
	v_fmac_f64_e32 v[58:59], v[2:3], v[32:33]
	v_fma_f64 v[36:37], v[36:37], v[40:41], -v[50:51]
	v_add_f64_e32 v[6:7], v[34:35], v[6:7]
	v_add_f64_e32 v[24:25], v[44:45], v[24:25]
	ds_load_b128 v[0:3], v4 offset:3072
	ds_load_b128 v[32:35], v5 offset:96
	;; [unrolled: 1-line block ×4, first 2 shown]
	v_fmac_f64_e32 v[52:53], v[38:39], v[40:41]
	v_add_nc_u32_e32 v4, 0x1000, v4
	s_wait_dscnt 0x2
	v_mul_f64_e32 v[56:57], v[2:3], v[34:35]
	v_mul_f64_e32 v[34:35], v[0:1], v[34:35]
	s_wait_dscnt 0x0
	v_mul_f64_e32 v[38:39], v[44:45], v[48:49]
	v_mul_f64_e32 v[40:41], v[42:43], v[48:49]
	v_add_f64_e32 v[6:7], v[6:7], v[54:55]
	v_add_f64_e32 v[24:25], v[24:25], v[58:59]
	v_fma_f64 v[0:1], v[0:1], v[32:33], -v[56:57]
	v_fmac_f64_e32 v[34:35], v[2:3], v[32:33]
	v_fmac_f64_e32 v[40:41], v[44:45], v[46:47]
	v_add_f64_e32 v[2:3], v[6:7], v[36:37]
	v_add_f64_e32 v[6:7], v[24:25], v[52:53]
	v_fma_f64 v[24:25], v[42:43], v[46:47], -v[38:39]
	s_delay_alu instid0(VALU_DEP_3) | instskip(NEXT) | instid1(VALU_DEP_3)
	v_add_f64_e32 v[0:1], v[2:3], v[0:1]
	v_add_f64_e32 v[2:3], v[6:7], v[34:35]
	s_delay_alu instid0(VALU_DEP_2) | instskip(NEXT) | instid1(VALU_DEP_2)
	v_add_f64_e32 v[0:1], v[0:1], v[24:25]
	v_add_f64_e32 v[2:3], v[2:3], v[40:41]
	s_cbranch_scc0 .LBB63_24
; %bb.25:                               ;   in Loop: Header=BB63_10 Depth=3
	flat_load_b128 v[4:7], v[22:23]
	v_mul_f64_e32 v[24:25], s[6:7], v[2:3]
	v_mul_f64_e32 v[32:33], s[6:7], v[0:1]
	s_delay_alu instid0(VALU_DEP_2) | instskip(NEXT) | instid1(VALU_DEP_2)
	v_fma_f64 v[0:1], s[4:5], v[0:1], -v[24:25]
	v_fmac_f64_e32 v[32:33], s[4:5], v[2:3]
	s_wait_loadcnt_dscnt 0x0
	s_delay_alu instid0(VALU_DEP_2) | instskip(NEXT) | instid1(VALU_DEP_2)
	v_add_f64_e32 v[0:1], v[0:1], v[4:5]
	v_add_f64_e32 v[2:3], v[32:33], v[6:7]
	flat_store_b128 v[22:23], v[0:3]
	s_branch .LBB63_9
.LBB63_26:
	s_endpgm
	.section	.rodata,"a",@progbits
	.p2align	6, 0x0
	.amdhsa_kernel _ZL24rocblas_symm_hemm_kernelILb1ELb1ELi32E19rocblas_complex_numIdEPKPKS1_PKPS1_EvbiiT2_T3_lllSA_lllT4_llli
		.amdhsa_group_segment_fixed_size 32768
		.amdhsa_private_segment_fixed_size 0
		.amdhsa_kernarg_size 392
		.amdhsa_user_sgpr_count 2
		.amdhsa_user_sgpr_dispatch_ptr 0
		.amdhsa_user_sgpr_queue_ptr 0
		.amdhsa_user_sgpr_kernarg_segment_ptr 1
		.amdhsa_user_sgpr_dispatch_id 0
		.amdhsa_user_sgpr_kernarg_preload_length 0
		.amdhsa_user_sgpr_kernarg_preload_offset 0
		.amdhsa_user_sgpr_private_segment_size 0
		.amdhsa_wavefront_size32 1
		.amdhsa_uses_dynamic_stack 0
		.amdhsa_enable_private_segment 0
		.amdhsa_system_sgpr_workgroup_id_x 1
		.amdhsa_system_sgpr_workgroup_id_y 1
		.amdhsa_system_sgpr_workgroup_id_z 1
		.amdhsa_system_sgpr_workgroup_info 0
		.amdhsa_system_vgpr_workitem_id 1
		.amdhsa_next_free_vgpr 62
		.amdhsa_next_free_sgpr 43
		.amdhsa_named_barrier_count 0
		.amdhsa_reserve_vcc 1
		.amdhsa_float_round_mode_32 0
		.amdhsa_float_round_mode_16_64 0
		.amdhsa_float_denorm_mode_32 3
		.amdhsa_float_denorm_mode_16_64 3
		.amdhsa_fp16_overflow 0
		.amdhsa_memory_ordered 1
		.amdhsa_forward_progress 1
		.amdhsa_inst_pref_size 12
		.amdhsa_round_robin_scheduling 0
		.amdhsa_exception_fp_ieee_invalid_op 0
		.amdhsa_exception_fp_denorm_src 0
		.amdhsa_exception_fp_ieee_div_zero 0
		.amdhsa_exception_fp_ieee_overflow 0
		.amdhsa_exception_fp_ieee_underflow 0
		.amdhsa_exception_fp_ieee_inexact 0
		.amdhsa_exception_int_div_zero 0
	.end_amdhsa_kernel
	.section	.text._ZL24rocblas_symm_hemm_kernelILb1ELb1ELi32E19rocblas_complex_numIdEPKPKS1_PKPS1_EvbiiT2_T3_lllSA_lllT4_llli,"axG",@progbits,_ZL24rocblas_symm_hemm_kernelILb1ELb1ELi32E19rocblas_complex_numIdEPKPKS1_PKPS1_EvbiiT2_T3_lllSA_lllT4_llli,comdat
.Lfunc_end63:
	.size	_ZL24rocblas_symm_hemm_kernelILb1ELb1ELi32E19rocblas_complex_numIdEPKPKS1_PKPS1_EvbiiT2_T3_lllSA_lllT4_llli, .Lfunc_end63-_ZL24rocblas_symm_hemm_kernelILb1ELb1ELi32E19rocblas_complex_numIdEPKPKS1_PKPS1_EvbiiT2_T3_lllSA_lllT4_llli
                                        ; -- End function
	.set _ZL24rocblas_symm_hemm_kernelILb1ELb1ELi32E19rocblas_complex_numIdEPKPKS1_PKPS1_EvbiiT2_T3_lllSA_lllT4_llli.num_vgpr, 62
	.set _ZL24rocblas_symm_hemm_kernelILb1ELb1ELi32E19rocblas_complex_numIdEPKPKS1_PKPS1_EvbiiT2_T3_lllSA_lllT4_llli.num_agpr, 0
	.set _ZL24rocblas_symm_hemm_kernelILb1ELb1ELi32E19rocblas_complex_numIdEPKPKS1_PKPS1_EvbiiT2_T3_lllSA_lllT4_llli.numbered_sgpr, 43
	.set _ZL24rocblas_symm_hemm_kernelILb1ELb1ELi32E19rocblas_complex_numIdEPKPKS1_PKPS1_EvbiiT2_T3_lllSA_lllT4_llli.num_named_barrier, 0
	.set _ZL24rocblas_symm_hemm_kernelILb1ELb1ELi32E19rocblas_complex_numIdEPKPKS1_PKPS1_EvbiiT2_T3_lllSA_lllT4_llli.private_seg_size, 0
	.set _ZL24rocblas_symm_hemm_kernelILb1ELb1ELi32E19rocblas_complex_numIdEPKPKS1_PKPS1_EvbiiT2_T3_lllSA_lllT4_llli.uses_vcc, 1
	.set _ZL24rocblas_symm_hemm_kernelILb1ELb1ELi32E19rocblas_complex_numIdEPKPKS1_PKPS1_EvbiiT2_T3_lllSA_lllT4_llli.uses_flat_scratch, 0
	.set _ZL24rocblas_symm_hemm_kernelILb1ELb1ELi32E19rocblas_complex_numIdEPKPKS1_PKPS1_EvbiiT2_T3_lllSA_lllT4_llli.has_dyn_sized_stack, 0
	.set _ZL24rocblas_symm_hemm_kernelILb1ELb1ELi32E19rocblas_complex_numIdEPKPKS1_PKPS1_EvbiiT2_T3_lllSA_lllT4_llli.has_recursion, 0
	.set _ZL24rocblas_symm_hemm_kernelILb1ELb1ELi32E19rocblas_complex_numIdEPKPKS1_PKPS1_EvbiiT2_T3_lllSA_lllT4_llli.has_indirect_call, 0
	.section	.AMDGPU.csdata,"",@progbits
; Kernel info:
; codeLenInByte = 1484
; TotalNumSgprs: 45
; NumVgprs: 62
; ScratchSize: 0
; MemoryBound: 1
; FloatMode: 240
; IeeeMode: 1
; LDSByteSize: 32768 bytes/workgroup (compile time only)
; SGPRBlocks: 0
; VGPRBlocks: 3
; NumSGPRsForWavesPerEU: 45
; NumVGPRsForWavesPerEU: 62
; NamedBarCnt: 0
; Occupancy: 16
; WaveLimiterHint : 1
; COMPUTE_PGM_RSRC2:SCRATCH_EN: 0
; COMPUTE_PGM_RSRC2:USER_SGPR: 2
; COMPUTE_PGM_RSRC2:TRAP_HANDLER: 0
; COMPUTE_PGM_RSRC2:TGID_X_EN: 1
; COMPUTE_PGM_RSRC2:TGID_Y_EN: 1
; COMPUTE_PGM_RSRC2:TGID_Z_EN: 1
; COMPUTE_PGM_RSRC2:TIDIG_COMP_CNT: 1
	.section	.AMDGPU.gpr_maximums,"",@progbits
	.set amdgpu.max_num_vgpr, 0
	.set amdgpu.max_num_agpr, 0
	.set amdgpu.max_num_sgpr, 0
	.section	.AMDGPU.csdata,"",@progbits
	.type	__hip_cuid_b484a4b95c3a8a3f,@object ; @__hip_cuid_b484a4b95c3a8a3f
	.section	.bss,"aw",@nobits
	.globl	__hip_cuid_b484a4b95c3a8a3f
__hip_cuid_b484a4b95c3a8a3f:
	.byte	0                               ; 0x0
	.size	__hip_cuid_b484a4b95c3a8a3f, 1

	.ident	"AMD clang version 22.0.0git (https://github.com/RadeonOpenCompute/llvm-project roc-7.2.4 26084 f58b06dce1f9c15707c5f808fd002e18c2accf7e)"
	.section	".note.GNU-stack","",@progbits
	.addrsig
	.addrsig_sym __hip_cuid_b484a4b95c3a8a3f
	.amdgpu_metadata
---
amdhsa.kernels:
  - .args:
      - .offset:         0
        .size:           4
        .value_kind:     by_value
      - .offset:         4
        .size:           4
        .value_kind:     by_value
      - .address_space:  global
        .offset:         8
        .size:           8
        .value_kind:     global_buffer
      - .address_space:  global
        .offset:         16
        .size:           8
        .value_kind:     global_buffer
      - .offset:         24
        .size:           8
        .value_kind:     by_value
      - .offset:         32
        .size:           8
        .value_kind:     by_value
      - .offset:         40
        .size:           8
        .value_kind:     by_value
      - .offset:         48
        .size:           4
        .value_kind:     by_value
      - .offset:         56
        .size:           4
        .value_kind:     hidden_block_count_x
      - .offset:         60
        .size:           4
        .value_kind:     hidden_block_count_y
      - .offset:         64
        .size:           4
        .value_kind:     hidden_block_count_z
      - .offset:         68
        .size:           2
        .value_kind:     hidden_group_size_x
      - .offset:         70
        .size:           2
        .value_kind:     hidden_group_size_y
      - .offset:         72
        .size:           2
        .value_kind:     hidden_group_size_z
      - .offset:         74
        .size:           2
        .value_kind:     hidden_remainder_x
      - .offset:         76
        .size:           2
        .value_kind:     hidden_remainder_y
      - .offset:         78
        .size:           2
        .value_kind:     hidden_remainder_z
      - .offset:         96
        .size:           8
        .value_kind:     hidden_global_offset_x
      - .offset:         104
        .size:           8
        .value_kind:     hidden_global_offset_y
      - .offset:         112
        .size:           8
        .value_kind:     hidden_global_offset_z
      - .offset:         120
        .size:           2
        .value_kind:     hidden_grid_dims
    .group_segment_fixed_size: 0
    .kernarg_segment_align: 8
    .kernarg_segment_size: 312
    .language:       OpenCL C
    .language_version:
      - 2
      - 0
    .max_flat_workgroup_size: 1024
    .name:           _ZL25rocblas_symm_scale_kernelILi128ELi8EPKfPfEviiT1_T2_llli
    .private_segment_fixed_size: 0
    .sgpr_count:     22
    .sgpr_spill_count: 0
    .symbol:         _ZL25rocblas_symm_scale_kernelILi128ELi8EPKfPfEviiT1_T2_llli.kd
    .uniform_work_group_size: 1
    .uses_dynamic_stack: false
    .vgpr_count:     9
    .vgpr_spill_count: 0
    .wavefront_size: 32
  - .args:
      - .offset:         0
        .size:           1
        .value_kind:     by_value
      - .offset:         4
        .size:           4
        .value_kind:     by_value
      - .offset:         8
        .size:           4
        .value_kind:     by_value
      - .address_space:  global
        .offset:         16
        .size:           8
        .value_kind:     global_buffer
      - .address_space:  global
        .offset:         24
        .size:           8
        .value_kind:     global_buffer
      - .offset:         32
        .size:           8
        .value_kind:     by_value
      - .offset:         40
        .size:           8
        .value_kind:     by_value
      - .offset:         48
        .size:           8
        .value_kind:     by_value
      - .address_space:  global
        .offset:         56
        .size:           8
        .value_kind:     global_buffer
      - .offset:         64
        .size:           8
        .value_kind:     by_value
      - .offset:         72
        .size:           8
        .value_kind:     by_value
      - .offset:         80
        .size:           8
        .value_kind:     by_value
      - .address_space:  global
        .offset:         88
        .size:           8
        .value_kind:     global_buffer
      - .offset:         96
        .size:           8
        .value_kind:     by_value
      - .offset:         104
        .size:           8
        .value_kind:     by_value
      - .offset:         112
        .size:           8
        .value_kind:     by_value
      - .offset:         120
        .size:           4
        .value_kind:     by_value
      - .offset:         128
        .size:           4
        .value_kind:     hidden_block_count_x
      - .offset:         132
        .size:           4
        .value_kind:     hidden_block_count_y
      - .offset:         136
        .size:           4
        .value_kind:     hidden_block_count_z
      - .offset:         140
        .size:           2
        .value_kind:     hidden_group_size_x
      - .offset:         142
        .size:           2
        .value_kind:     hidden_group_size_y
      - .offset:         144
        .size:           2
        .value_kind:     hidden_group_size_z
      - .offset:         146
        .size:           2
        .value_kind:     hidden_remainder_x
      - .offset:         148
        .size:           2
        .value_kind:     hidden_remainder_y
      - .offset:         150
        .size:           2
        .value_kind:     hidden_remainder_z
      - .offset:         168
        .size:           8
        .value_kind:     hidden_global_offset_x
      - .offset:         176
        .size:           8
        .value_kind:     hidden_global_offset_y
      - .offset:         184
        .size:           8
        .value_kind:     hidden_global_offset_z
      - .offset:         192
        .size:           2
        .value_kind:     hidden_grid_dims
    .group_segment_fixed_size: 8192
    .kernarg_segment_align: 8
    .kernarg_segment_size: 384
    .language:       OpenCL C
    .language_version:
      - 2
      - 0
    .max_flat_workgroup_size: 1024
    .name:           _ZL24rocblas_symm_hemm_kernelILb0ELb0ELi32EPKfS1_PfEvbiiT2_T3_lllS4_lllT4_llli
    .private_segment_fixed_size: 0
    .sgpr_count:     43
    .sgpr_spill_count: 0
    .symbol:         _ZL24rocblas_symm_hemm_kernelILb0ELb0ELi32EPKfS1_PfEvbiiT2_T3_lllS4_lllT4_llli.kd
    .uniform_work_group_size: 1
    .uses_dynamic_stack: false
    .vgpr_count:     34
    .vgpr_spill_count: 0
    .wavefront_size: 32
  - .args:
      - .offset:         0
        .size:           1
        .value_kind:     by_value
      - .offset:         4
        .size:           4
        .value_kind:     by_value
      - .offset:         8
        .size:           4
        .value_kind:     by_value
      - .address_space:  global
        .offset:         16
        .size:           8
        .value_kind:     global_buffer
      - .address_space:  global
        .offset:         24
        .size:           8
        .value_kind:     global_buffer
      - .offset:         32
        .size:           8
        .value_kind:     by_value
      - .offset:         40
        .size:           8
        .value_kind:     by_value
      - .offset:         48
        .size:           8
        .value_kind:     by_value
      - .address_space:  global
        .offset:         56
        .size:           8
        .value_kind:     global_buffer
      - .offset:         64
        .size:           8
        .value_kind:     by_value
      - .offset:         72
        .size:           8
        .value_kind:     by_value
      - .offset:         80
        .size:           8
        .value_kind:     by_value
      - .address_space:  global
        .offset:         88
        .size:           8
        .value_kind:     global_buffer
      - .offset:         96
        .size:           8
        .value_kind:     by_value
      - .offset:         104
        .size:           8
        .value_kind:     by_value
      - .offset:         112
        .size:           8
        .value_kind:     by_value
      - .offset:         120
        .size:           4
        .value_kind:     by_value
      - .offset:         128
        .size:           4
        .value_kind:     hidden_block_count_x
      - .offset:         132
        .size:           4
        .value_kind:     hidden_block_count_y
      - .offset:         136
        .size:           4
        .value_kind:     hidden_block_count_z
      - .offset:         140
        .size:           2
        .value_kind:     hidden_group_size_x
      - .offset:         142
        .size:           2
        .value_kind:     hidden_group_size_y
      - .offset:         144
        .size:           2
        .value_kind:     hidden_group_size_z
      - .offset:         146
        .size:           2
        .value_kind:     hidden_remainder_x
      - .offset:         148
        .size:           2
        .value_kind:     hidden_remainder_y
      - .offset:         150
        .size:           2
        .value_kind:     hidden_remainder_z
      - .offset:         168
        .size:           8
        .value_kind:     hidden_global_offset_x
      - .offset:         176
        .size:           8
        .value_kind:     hidden_global_offset_y
      - .offset:         184
        .size:           8
        .value_kind:     hidden_global_offset_z
      - .offset:         192
        .size:           2
        .value_kind:     hidden_grid_dims
    .group_segment_fixed_size: 8192
    .kernarg_segment_align: 8
    .kernarg_segment_size: 384
    .language:       OpenCL C
    .language_version:
      - 2
      - 0
    .max_flat_workgroup_size: 1024
    .name:           _ZL24rocblas_symm_hemm_kernelILb0ELb1ELi32EPKfS1_PfEvbiiT2_T3_lllS4_lllT4_llli
    .private_segment_fixed_size: 0
    .sgpr_count:     41
    .sgpr_spill_count: 0
    .symbol:         _ZL24rocblas_symm_hemm_kernelILb0ELb1ELi32EPKfS1_PfEvbiiT2_T3_lllS4_lllT4_llli.kd
    .uniform_work_group_size: 1
    .uses_dynamic_stack: false
    .vgpr_count:     36
    .vgpr_spill_count: 0
    .wavefront_size: 32
  - .args:
      - .offset:         0
        .size:           4
        .value_kind:     by_value
      - .offset:         4
        .size:           4
        .value_kind:     by_value
      - .offset:         8
        .size:           4
        .value_kind:     by_value
      - .address_space:  global
        .offset:         16
        .size:           8
        .value_kind:     global_buffer
      - .offset:         24
        .size:           8
        .value_kind:     by_value
      - .offset:         32
        .size:           8
        .value_kind:     by_value
      - .offset:         40
        .size:           8
        .value_kind:     by_value
      - .offset:         48
        .size:           4
        .value_kind:     by_value
      - .offset:         56
        .size:           4
        .value_kind:     hidden_block_count_x
      - .offset:         60
        .size:           4
        .value_kind:     hidden_block_count_y
      - .offset:         64
        .size:           4
        .value_kind:     hidden_block_count_z
      - .offset:         68
        .size:           2
        .value_kind:     hidden_group_size_x
      - .offset:         70
        .size:           2
        .value_kind:     hidden_group_size_y
      - .offset:         72
        .size:           2
        .value_kind:     hidden_group_size_z
      - .offset:         74
        .size:           2
        .value_kind:     hidden_remainder_x
      - .offset:         76
        .size:           2
        .value_kind:     hidden_remainder_y
      - .offset:         78
        .size:           2
        .value_kind:     hidden_remainder_z
      - .offset:         96
        .size:           8
        .value_kind:     hidden_global_offset_x
      - .offset:         104
        .size:           8
        .value_kind:     hidden_global_offset_y
      - .offset:         112
        .size:           8
        .value_kind:     hidden_global_offset_z
      - .offset:         120
        .size:           2
        .value_kind:     hidden_grid_dims
    .group_segment_fixed_size: 0
    .kernarg_segment_align: 8
    .kernarg_segment_size: 312
    .language:       OpenCL C
    .language_version:
      - 2
      - 0
    .max_flat_workgroup_size: 1024
    .name:           _ZL25rocblas_symm_scale_kernelILi128ELi8EfPfEviiT1_T2_llli
    .private_segment_fixed_size: 0
    .sgpr_count:     24
    .sgpr_spill_count: 0
    .symbol:         _ZL25rocblas_symm_scale_kernelILi128ELi8EfPfEviiT1_T2_llli.kd
    .uniform_work_group_size: 1
    .uses_dynamic_stack: false
    .vgpr_count:     9
    .vgpr_spill_count: 0
    .wavefront_size: 32
  - .args:
      - .offset:         0
        .size:           1
        .value_kind:     by_value
      - .offset:         4
        .size:           4
        .value_kind:     by_value
      - .offset:         8
        .size:           4
        .value_kind:     by_value
      - .offset:         12
        .size:           4
        .value_kind:     by_value
      - .address_space:  global
        .offset:         16
        .size:           8
        .value_kind:     global_buffer
      - .offset:         24
        .size:           8
        .value_kind:     by_value
      - .offset:         32
        .size:           8
        .value_kind:     by_value
      - .offset:         40
        .size:           8
        .value_kind:     by_value
      - .address_space:  global
        .offset:         48
        .size:           8
        .value_kind:     global_buffer
      - .offset:         56
        .size:           8
        .value_kind:     by_value
      - .offset:         64
        .size:           8
        .value_kind:     by_value
      - .offset:         72
        .size:           8
        .value_kind:     by_value
      - .address_space:  global
        .offset:         80
        .size:           8
        .value_kind:     global_buffer
      - .offset:         88
        .size:           8
        .value_kind:     by_value
      - .offset:         96
        .size:           8
        .value_kind:     by_value
      - .offset:         104
        .size:           8
        .value_kind:     by_value
      - .offset:         112
        .size:           4
        .value_kind:     by_value
      - .offset:         120
        .size:           4
        .value_kind:     hidden_block_count_x
      - .offset:         124
        .size:           4
        .value_kind:     hidden_block_count_y
      - .offset:         128
        .size:           4
        .value_kind:     hidden_block_count_z
      - .offset:         132
        .size:           2
        .value_kind:     hidden_group_size_x
      - .offset:         134
        .size:           2
        .value_kind:     hidden_group_size_y
      - .offset:         136
        .size:           2
        .value_kind:     hidden_group_size_z
      - .offset:         138
        .size:           2
        .value_kind:     hidden_remainder_x
      - .offset:         140
        .size:           2
        .value_kind:     hidden_remainder_y
      - .offset:         142
        .size:           2
        .value_kind:     hidden_remainder_z
      - .offset:         160
        .size:           8
        .value_kind:     hidden_global_offset_x
      - .offset:         168
        .size:           8
        .value_kind:     hidden_global_offset_y
      - .offset:         176
        .size:           8
        .value_kind:     hidden_global_offset_z
      - .offset:         184
        .size:           2
        .value_kind:     hidden_grid_dims
    .group_segment_fixed_size: 8192
    .kernarg_segment_align: 8
    .kernarg_segment_size: 376
    .language:       OpenCL C
    .language_version:
      - 2
      - 0
    .max_flat_workgroup_size: 1024
    .name:           _ZL24rocblas_symm_hemm_kernelILb0ELb0ELi32EfPKfPfEvbiiT2_T3_lllS4_lllT4_llli
    .private_segment_fixed_size: 0
    .sgpr_count:     43
    .sgpr_spill_count: 0
    .symbol:         _ZL24rocblas_symm_hemm_kernelILb0ELb0ELi32EfPKfPfEvbiiT2_T3_lllS4_lllT4_llli.kd
    .uniform_work_group_size: 1
    .uses_dynamic_stack: false
    .vgpr_count:     34
    .vgpr_spill_count: 0
    .wavefront_size: 32
  - .args:
      - .offset:         0
        .size:           1
        .value_kind:     by_value
      - .offset:         4
        .size:           4
        .value_kind:     by_value
      - .offset:         8
        .size:           4
        .value_kind:     by_value
      - .offset:         12
        .size:           4
        .value_kind:     by_value
      - .address_space:  global
        .offset:         16
        .size:           8
        .value_kind:     global_buffer
      - .offset:         24
        .size:           8
        .value_kind:     by_value
      - .offset:         32
        .size:           8
        .value_kind:     by_value
      - .offset:         40
        .size:           8
        .value_kind:     by_value
      - .address_space:  global
        .offset:         48
        .size:           8
        .value_kind:     global_buffer
      - .offset:         56
        .size:           8
        .value_kind:     by_value
      - .offset:         64
        .size:           8
        .value_kind:     by_value
      - .offset:         72
        .size:           8
        .value_kind:     by_value
      - .address_space:  global
        .offset:         80
        .size:           8
        .value_kind:     global_buffer
      - .offset:         88
        .size:           8
        .value_kind:     by_value
      - .offset:         96
        .size:           8
        .value_kind:     by_value
      - .offset:         104
        .size:           8
        .value_kind:     by_value
      - .offset:         112
        .size:           4
        .value_kind:     by_value
      - .offset:         120
        .size:           4
        .value_kind:     hidden_block_count_x
      - .offset:         124
        .size:           4
        .value_kind:     hidden_block_count_y
      - .offset:         128
        .size:           4
        .value_kind:     hidden_block_count_z
      - .offset:         132
        .size:           2
        .value_kind:     hidden_group_size_x
      - .offset:         134
        .size:           2
        .value_kind:     hidden_group_size_y
      - .offset:         136
        .size:           2
        .value_kind:     hidden_group_size_z
      - .offset:         138
        .size:           2
        .value_kind:     hidden_remainder_x
      - .offset:         140
        .size:           2
        .value_kind:     hidden_remainder_y
      - .offset:         142
        .size:           2
        .value_kind:     hidden_remainder_z
      - .offset:         160
        .size:           8
        .value_kind:     hidden_global_offset_x
      - .offset:         168
        .size:           8
        .value_kind:     hidden_global_offset_y
      - .offset:         176
        .size:           8
        .value_kind:     hidden_global_offset_z
      - .offset:         184
        .size:           2
        .value_kind:     hidden_grid_dims
    .group_segment_fixed_size: 8192
    .kernarg_segment_align: 8
    .kernarg_segment_size: 376
    .language:       OpenCL C
    .language_version:
      - 2
      - 0
    .max_flat_workgroup_size: 1024
    .name:           _ZL24rocblas_symm_hemm_kernelILb0ELb1ELi32EfPKfPfEvbiiT2_T3_lllS4_lllT4_llli
    .private_segment_fixed_size: 0
    .sgpr_count:     43
    .sgpr_spill_count: 0
    .symbol:         _ZL24rocblas_symm_hemm_kernelILb0ELb1ELi32EfPKfPfEvbiiT2_T3_lllS4_lllT4_llli.kd
    .uniform_work_group_size: 1
    .uses_dynamic_stack: false
    .vgpr_count:     36
    .vgpr_spill_count: 0
    .wavefront_size: 32
  - .args:
      - .offset:         0
        .size:           4
        .value_kind:     by_value
      - .offset:         4
        .size:           4
        .value_kind:     by_value
      - .address_space:  global
        .offset:         8
        .size:           8
        .value_kind:     global_buffer
      - .address_space:  global
        .offset:         16
        .size:           8
        .value_kind:     global_buffer
      - .offset:         24
        .size:           8
        .value_kind:     by_value
      - .offset:         32
        .size:           8
        .value_kind:     by_value
      - .offset:         40
        .size:           8
        .value_kind:     by_value
      - .offset:         48
        .size:           4
        .value_kind:     by_value
      - .offset:         56
        .size:           4
        .value_kind:     hidden_block_count_x
      - .offset:         60
        .size:           4
        .value_kind:     hidden_block_count_y
      - .offset:         64
        .size:           4
        .value_kind:     hidden_block_count_z
      - .offset:         68
        .size:           2
        .value_kind:     hidden_group_size_x
      - .offset:         70
        .size:           2
        .value_kind:     hidden_group_size_y
      - .offset:         72
        .size:           2
        .value_kind:     hidden_group_size_z
      - .offset:         74
        .size:           2
        .value_kind:     hidden_remainder_x
      - .offset:         76
        .size:           2
        .value_kind:     hidden_remainder_y
      - .offset:         78
        .size:           2
        .value_kind:     hidden_remainder_z
      - .offset:         96
        .size:           8
        .value_kind:     hidden_global_offset_x
      - .offset:         104
        .size:           8
        .value_kind:     hidden_global_offset_y
      - .offset:         112
        .size:           8
        .value_kind:     hidden_global_offset_z
      - .offset:         120
        .size:           2
        .value_kind:     hidden_grid_dims
    .group_segment_fixed_size: 0
    .kernarg_segment_align: 8
    .kernarg_segment_size: 312
    .language:       OpenCL C
    .language_version:
      - 2
      - 0
    .max_flat_workgroup_size: 1024
    .name:           _ZL25rocblas_symm_scale_kernelILi128ELi8EPKdPdEviiT1_T2_llli
    .private_segment_fixed_size: 0
    .sgpr_count:     22
    .sgpr_spill_count: 0
    .symbol:         _ZL25rocblas_symm_scale_kernelILi128ELi8EPKdPdEviiT1_T2_llli.kd
    .uniform_work_group_size: 1
    .uses_dynamic_stack: false
    .vgpr_count:     10
    .vgpr_spill_count: 0
    .wavefront_size: 32
  - .args:
      - .offset:         0
        .size:           1
        .value_kind:     by_value
      - .offset:         4
        .size:           4
        .value_kind:     by_value
      - .offset:         8
        .size:           4
        .value_kind:     by_value
      - .address_space:  global
        .offset:         16
        .size:           8
        .value_kind:     global_buffer
      - .address_space:  global
        .offset:         24
        .size:           8
        .value_kind:     global_buffer
      - .offset:         32
        .size:           8
        .value_kind:     by_value
      - .offset:         40
        .size:           8
        .value_kind:     by_value
      - .offset:         48
        .size:           8
        .value_kind:     by_value
      - .address_space:  global
        .offset:         56
        .size:           8
        .value_kind:     global_buffer
      - .offset:         64
        .size:           8
        .value_kind:     by_value
      - .offset:         72
        .size:           8
        .value_kind:     by_value
      - .offset:         80
        .size:           8
        .value_kind:     by_value
      - .address_space:  global
        .offset:         88
        .size:           8
        .value_kind:     global_buffer
      - .offset:         96
        .size:           8
        .value_kind:     by_value
      - .offset:         104
        .size:           8
        .value_kind:     by_value
      - .offset:         112
        .size:           8
        .value_kind:     by_value
      - .offset:         120
        .size:           4
        .value_kind:     by_value
      - .offset:         128
        .size:           4
        .value_kind:     hidden_block_count_x
      - .offset:         132
        .size:           4
        .value_kind:     hidden_block_count_y
      - .offset:         136
        .size:           4
        .value_kind:     hidden_block_count_z
      - .offset:         140
        .size:           2
        .value_kind:     hidden_group_size_x
      - .offset:         142
        .size:           2
        .value_kind:     hidden_group_size_y
      - .offset:         144
        .size:           2
        .value_kind:     hidden_group_size_z
      - .offset:         146
        .size:           2
        .value_kind:     hidden_remainder_x
      - .offset:         148
        .size:           2
        .value_kind:     hidden_remainder_y
      - .offset:         150
        .size:           2
        .value_kind:     hidden_remainder_z
      - .offset:         168
        .size:           8
        .value_kind:     hidden_global_offset_x
      - .offset:         176
        .size:           8
        .value_kind:     hidden_global_offset_y
      - .offset:         184
        .size:           8
        .value_kind:     hidden_global_offset_z
      - .offset:         192
        .size:           2
        .value_kind:     hidden_grid_dims
    .group_segment_fixed_size: 16384
    .kernarg_segment_align: 8
    .kernarg_segment_size: 384
    .language:       OpenCL C
    .language_version:
      - 2
      - 0
    .max_flat_workgroup_size: 1024
    .name:           _ZL24rocblas_symm_hemm_kernelILb0ELb0ELi32EPKdS1_PdEvbiiT2_T3_lllS4_lllT4_llli
    .private_segment_fixed_size: 0
    .sgpr_count:     45
    .sgpr_spill_count: 0
    .symbol:         _ZL24rocblas_symm_hemm_kernelILb0ELb0ELi32EPKdS1_PdEvbiiT2_T3_lllS4_lllT4_llli.kd
    .uniform_work_group_size: 1
    .uses_dynamic_stack: false
    .vgpr_count:     34
    .vgpr_spill_count: 0
    .wavefront_size: 32
  - .args:
      - .offset:         0
        .size:           1
        .value_kind:     by_value
      - .offset:         4
        .size:           4
        .value_kind:     by_value
      - .offset:         8
        .size:           4
        .value_kind:     by_value
      - .address_space:  global
        .offset:         16
        .size:           8
        .value_kind:     global_buffer
      - .address_space:  global
        .offset:         24
        .size:           8
        .value_kind:     global_buffer
      - .offset:         32
        .size:           8
        .value_kind:     by_value
      - .offset:         40
        .size:           8
        .value_kind:     by_value
      - .offset:         48
        .size:           8
        .value_kind:     by_value
      - .address_space:  global
        .offset:         56
        .size:           8
        .value_kind:     global_buffer
      - .offset:         64
        .size:           8
        .value_kind:     by_value
      - .offset:         72
        .size:           8
        .value_kind:     by_value
      - .offset:         80
        .size:           8
        .value_kind:     by_value
      - .address_space:  global
        .offset:         88
        .size:           8
        .value_kind:     global_buffer
      - .offset:         96
        .size:           8
        .value_kind:     by_value
      - .offset:         104
        .size:           8
        .value_kind:     by_value
      - .offset:         112
        .size:           8
        .value_kind:     by_value
      - .offset:         120
        .size:           4
        .value_kind:     by_value
      - .offset:         128
        .size:           4
        .value_kind:     hidden_block_count_x
      - .offset:         132
        .size:           4
        .value_kind:     hidden_block_count_y
      - .offset:         136
        .size:           4
        .value_kind:     hidden_block_count_z
      - .offset:         140
        .size:           2
        .value_kind:     hidden_group_size_x
      - .offset:         142
        .size:           2
        .value_kind:     hidden_group_size_y
      - .offset:         144
        .size:           2
        .value_kind:     hidden_group_size_z
      - .offset:         146
        .size:           2
        .value_kind:     hidden_remainder_x
      - .offset:         148
        .size:           2
        .value_kind:     hidden_remainder_y
      - .offset:         150
        .size:           2
        .value_kind:     hidden_remainder_z
      - .offset:         168
        .size:           8
        .value_kind:     hidden_global_offset_x
      - .offset:         176
        .size:           8
        .value_kind:     hidden_global_offset_y
      - .offset:         184
        .size:           8
        .value_kind:     hidden_global_offset_z
      - .offset:         192
        .size:           2
        .value_kind:     hidden_grid_dims
    .group_segment_fixed_size: 16384
    .kernarg_segment_align: 8
    .kernarg_segment_size: 384
    .language:       OpenCL C
    .language_version:
      - 2
      - 0
    .max_flat_workgroup_size: 1024
    .name:           _ZL24rocblas_symm_hemm_kernelILb0ELb1ELi32EPKdS1_PdEvbiiT2_T3_lllS4_lllT4_llli
    .private_segment_fixed_size: 0
    .sgpr_count:     43
    .sgpr_spill_count: 0
    .symbol:         _ZL24rocblas_symm_hemm_kernelILb0ELb1ELi32EPKdS1_PdEvbiiT2_T3_lllS4_lllT4_llli.kd
    .uniform_work_group_size: 1
    .uses_dynamic_stack: false
    .vgpr_count:     38
    .vgpr_spill_count: 0
    .wavefront_size: 32
  - .args:
      - .offset:         0
        .size:           4
        .value_kind:     by_value
      - .offset:         4
        .size:           4
        .value_kind:     by_value
      - .offset:         8
        .size:           8
        .value_kind:     by_value
      - .address_space:  global
        .offset:         16
        .size:           8
        .value_kind:     global_buffer
      - .offset:         24
        .size:           8
        .value_kind:     by_value
      - .offset:         32
        .size:           8
        .value_kind:     by_value
      - .offset:         40
        .size:           8
        .value_kind:     by_value
      - .offset:         48
        .size:           4
        .value_kind:     by_value
      - .offset:         56
        .size:           4
        .value_kind:     hidden_block_count_x
      - .offset:         60
        .size:           4
        .value_kind:     hidden_block_count_y
      - .offset:         64
        .size:           4
        .value_kind:     hidden_block_count_z
      - .offset:         68
        .size:           2
        .value_kind:     hidden_group_size_x
      - .offset:         70
        .size:           2
        .value_kind:     hidden_group_size_y
      - .offset:         72
        .size:           2
        .value_kind:     hidden_group_size_z
      - .offset:         74
        .size:           2
        .value_kind:     hidden_remainder_x
      - .offset:         76
        .size:           2
        .value_kind:     hidden_remainder_y
      - .offset:         78
        .size:           2
        .value_kind:     hidden_remainder_z
      - .offset:         96
        .size:           8
        .value_kind:     hidden_global_offset_x
      - .offset:         104
        .size:           8
        .value_kind:     hidden_global_offset_y
      - .offset:         112
        .size:           8
        .value_kind:     hidden_global_offset_z
      - .offset:         120
        .size:           2
        .value_kind:     hidden_grid_dims
    .group_segment_fixed_size: 0
    .kernarg_segment_align: 8
    .kernarg_segment_size: 312
    .language:       OpenCL C
    .language_version:
      - 2
      - 0
    .max_flat_workgroup_size: 1024
    .name:           _ZL25rocblas_symm_scale_kernelILi128ELi8EdPdEviiT1_T2_llli
    .private_segment_fixed_size: 0
    .sgpr_count:     22
    .sgpr_spill_count: 0
    .symbol:         _ZL25rocblas_symm_scale_kernelILi128ELi8EdPdEviiT1_T2_llli.kd
    .uniform_work_group_size: 1
    .uses_dynamic_stack: false
    .vgpr_count:     10
    .vgpr_spill_count: 0
    .wavefront_size: 32
  - .args:
      - .offset:         0
        .size:           1
        .value_kind:     by_value
      - .offset:         4
        .size:           4
        .value_kind:     by_value
      - .offset:         8
        .size:           4
        .value_kind:     by_value
      - .offset:         16
        .size:           8
        .value_kind:     by_value
      - .address_space:  global
        .offset:         24
        .size:           8
        .value_kind:     global_buffer
      - .offset:         32
        .size:           8
        .value_kind:     by_value
      - .offset:         40
        .size:           8
        .value_kind:     by_value
      - .offset:         48
        .size:           8
        .value_kind:     by_value
      - .address_space:  global
        .offset:         56
        .size:           8
        .value_kind:     global_buffer
      - .offset:         64
        .size:           8
        .value_kind:     by_value
      - .offset:         72
        .size:           8
        .value_kind:     by_value
      - .offset:         80
        .size:           8
        .value_kind:     by_value
      - .address_space:  global
        .offset:         88
        .size:           8
        .value_kind:     global_buffer
      - .offset:         96
        .size:           8
        .value_kind:     by_value
      - .offset:         104
        .size:           8
        .value_kind:     by_value
      - .offset:         112
        .size:           8
        .value_kind:     by_value
      - .offset:         120
        .size:           4
        .value_kind:     by_value
      - .offset:         128
        .size:           4
        .value_kind:     hidden_block_count_x
      - .offset:         132
        .size:           4
        .value_kind:     hidden_block_count_y
      - .offset:         136
        .size:           4
        .value_kind:     hidden_block_count_z
      - .offset:         140
        .size:           2
        .value_kind:     hidden_group_size_x
      - .offset:         142
        .size:           2
        .value_kind:     hidden_group_size_y
      - .offset:         144
        .size:           2
        .value_kind:     hidden_group_size_z
      - .offset:         146
        .size:           2
        .value_kind:     hidden_remainder_x
      - .offset:         148
        .size:           2
        .value_kind:     hidden_remainder_y
      - .offset:         150
        .size:           2
        .value_kind:     hidden_remainder_z
      - .offset:         168
        .size:           8
        .value_kind:     hidden_global_offset_x
      - .offset:         176
        .size:           8
        .value_kind:     hidden_global_offset_y
      - .offset:         184
        .size:           8
        .value_kind:     hidden_global_offset_z
      - .offset:         192
        .size:           2
        .value_kind:     hidden_grid_dims
    .group_segment_fixed_size: 16384
    .kernarg_segment_align: 8
    .kernarg_segment_size: 384
    .language:       OpenCL C
    .language_version:
      - 2
      - 0
    .max_flat_workgroup_size: 1024
    .name:           _ZL24rocblas_symm_hemm_kernelILb0ELb0ELi32EdPKdPdEvbiiT2_T3_lllS4_lllT4_llli
    .private_segment_fixed_size: 0
    .sgpr_count:     45
    .sgpr_spill_count: 0
    .symbol:         _ZL24rocblas_symm_hemm_kernelILb0ELb0ELi32EdPKdPdEvbiiT2_T3_lllS4_lllT4_llli.kd
    .uniform_work_group_size: 1
    .uses_dynamic_stack: false
    .vgpr_count:     34
    .vgpr_spill_count: 0
    .wavefront_size: 32
  - .args:
      - .offset:         0
        .size:           1
        .value_kind:     by_value
      - .offset:         4
        .size:           4
        .value_kind:     by_value
      - .offset:         8
        .size:           4
        .value_kind:     by_value
      - .offset:         16
        .size:           8
        .value_kind:     by_value
      - .address_space:  global
        .offset:         24
        .size:           8
        .value_kind:     global_buffer
      - .offset:         32
        .size:           8
        .value_kind:     by_value
      - .offset:         40
        .size:           8
        .value_kind:     by_value
      - .offset:         48
        .size:           8
        .value_kind:     by_value
      - .address_space:  global
        .offset:         56
        .size:           8
        .value_kind:     global_buffer
      - .offset:         64
        .size:           8
        .value_kind:     by_value
      - .offset:         72
        .size:           8
        .value_kind:     by_value
      - .offset:         80
        .size:           8
        .value_kind:     by_value
      - .address_space:  global
        .offset:         88
        .size:           8
        .value_kind:     global_buffer
      - .offset:         96
        .size:           8
        .value_kind:     by_value
      - .offset:         104
        .size:           8
        .value_kind:     by_value
      - .offset:         112
        .size:           8
        .value_kind:     by_value
      - .offset:         120
        .size:           4
        .value_kind:     by_value
      - .offset:         128
        .size:           4
        .value_kind:     hidden_block_count_x
      - .offset:         132
        .size:           4
        .value_kind:     hidden_block_count_y
      - .offset:         136
        .size:           4
        .value_kind:     hidden_block_count_z
      - .offset:         140
        .size:           2
        .value_kind:     hidden_group_size_x
      - .offset:         142
        .size:           2
        .value_kind:     hidden_group_size_y
      - .offset:         144
        .size:           2
        .value_kind:     hidden_group_size_z
      - .offset:         146
        .size:           2
        .value_kind:     hidden_remainder_x
      - .offset:         148
        .size:           2
        .value_kind:     hidden_remainder_y
      - .offset:         150
        .size:           2
        .value_kind:     hidden_remainder_z
      - .offset:         168
        .size:           8
        .value_kind:     hidden_global_offset_x
      - .offset:         176
        .size:           8
        .value_kind:     hidden_global_offset_y
      - .offset:         184
        .size:           8
        .value_kind:     hidden_global_offset_z
      - .offset:         192
        .size:           2
        .value_kind:     hidden_grid_dims
    .group_segment_fixed_size: 16384
    .kernarg_segment_align: 8
    .kernarg_segment_size: 384
    .language:       OpenCL C
    .language_version:
      - 2
      - 0
    .max_flat_workgroup_size: 1024
    .name:           _ZL24rocblas_symm_hemm_kernelILb0ELb1ELi32EdPKdPdEvbiiT2_T3_lllS4_lllT4_llli
    .private_segment_fixed_size: 0
    .sgpr_count:     43
    .sgpr_spill_count: 0
    .symbol:         _ZL24rocblas_symm_hemm_kernelILb0ELb1ELi32EdPKdPdEvbiiT2_T3_lllS4_lllT4_llli.kd
    .uniform_work_group_size: 1
    .uses_dynamic_stack: false
    .vgpr_count:     38
    .vgpr_spill_count: 0
    .wavefront_size: 32
  - .args:
      - .offset:         0
        .size:           4
        .value_kind:     by_value
      - .offset:         4
        .size:           4
        .value_kind:     by_value
      - .address_space:  global
        .offset:         8
        .size:           8
        .value_kind:     global_buffer
      - .address_space:  global
        .offset:         16
        .size:           8
        .value_kind:     global_buffer
      - .offset:         24
        .size:           8
        .value_kind:     by_value
      - .offset:         32
        .size:           8
        .value_kind:     by_value
      - .offset:         40
        .size:           8
        .value_kind:     by_value
      - .offset:         48
        .size:           4
        .value_kind:     by_value
      - .offset:         56
        .size:           4
        .value_kind:     hidden_block_count_x
      - .offset:         60
        .size:           4
        .value_kind:     hidden_block_count_y
      - .offset:         64
        .size:           4
        .value_kind:     hidden_block_count_z
      - .offset:         68
        .size:           2
        .value_kind:     hidden_group_size_x
      - .offset:         70
        .size:           2
        .value_kind:     hidden_group_size_y
      - .offset:         72
        .size:           2
        .value_kind:     hidden_group_size_z
      - .offset:         74
        .size:           2
        .value_kind:     hidden_remainder_x
      - .offset:         76
        .size:           2
        .value_kind:     hidden_remainder_y
      - .offset:         78
        .size:           2
        .value_kind:     hidden_remainder_z
      - .offset:         96
        .size:           8
        .value_kind:     hidden_global_offset_x
      - .offset:         104
        .size:           8
        .value_kind:     hidden_global_offset_y
      - .offset:         112
        .size:           8
        .value_kind:     hidden_global_offset_z
      - .offset:         120
        .size:           2
        .value_kind:     hidden_grid_dims
    .group_segment_fixed_size: 0
    .kernarg_segment_align: 8
    .kernarg_segment_size: 312
    .language:       OpenCL C
    .language_version:
      - 2
      - 0
    .max_flat_workgroup_size: 1024
    .name:           _ZL25rocblas_symm_scale_kernelILi128ELi8EPK19rocblas_complex_numIfEPS1_EviiT1_T2_llli
    .private_segment_fixed_size: 0
    .sgpr_count:     24
    .sgpr_spill_count: 0
    .symbol:         _ZL25rocblas_symm_scale_kernelILi128ELi8EPK19rocblas_complex_numIfEPS1_EviiT1_T2_llli.kd
    .uniform_work_group_size: 1
    .uses_dynamic_stack: false
    .vgpr_count:     16
    .vgpr_spill_count: 0
    .wavefront_size: 32
  - .args:
      - .offset:         0
        .size:           1
        .value_kind:     by_value
      - .offset:         4
        .size:           4
        .value_kind:     by_value
      - .offset:         8
        .size:           4
        .value_kind:     by_value
      - .address_space:  global
        .offset:         16
        .size:           8
        .value_kind:     global_buffer
      - .address_space:  global
        .offset:         24
        .size:           8
        .value_kind:     global_buffer
      - .offset:         32
        .size:           8
        .value_kind:     by_value
      - .offset:         40
        .size:           8
        .value_kind:     by_value
      - .offset:         48
        .size:           8
        .value_kind:     by_value
      - .address_space:  global
        .offset:         56
        .size:           8
        .value_kind:     global_buffer
      - .offset:         64
        .size:           8
        .value_kind:     by_value
      - .offset:         72
        .size:           8
        .value_kind:     by_value
      - .offset:         80
        .size:           8
        .value_kind:     by_value
      - .address_space:  global
        .offset:         88
        .size:           8
        .value_kind:     global_buffer
      - .offset:         96
        .size:           8
        .value_kind:     by_value
      - .offset:         104
        .size:           8
        .value_kind:     by_value
      - .offset:         112
        .size:           8
        .value_kind:     by_value
      - .offset:         120
        .size:           4
        .value_kind:     by_value
      - .offset:         128
        .size:           4
        .value_kind:     hidden_block_count_x
      - .offset:         132
        .size:           4
        .value_kind:     hidden_block_count_y
      - .offset:         136
        .size:           4
        .value_kind:     hidden_block_count_z
      - .offset:         140
        .size:           2
        .value_kind:     hidden_group_size_x
      - .offset:         142
        .size:           2
        .value_kind:     hidden_group_size_y
      - .offset:         144
        .size:           2
        .value_kind:     hidden_group_size_z
      - .offset:         146
        .size:           2
        .value_kind:     hidden_remainder_x
      - .offset:         148
        .size:           2
        .value_kind:     hidden_remainder_y
      - .offset:         150
        .size:           2
        .value_kind:     hidden_remainder_z
      - .offset:         168
        .size:           8
        .value_kind:     hidden_global_offset_x
      - .offset:         176
        .size:           8
        .value_kind:     hidden_global_offset_y
      - .offset:         184
        .size:           8
        .value_kind:     hidden_global_offset_z
      - .offset:         192
        .size:           2
        .value_kind:     hidden_grid_dims
    .group_segment_fixed_size: 16384
    .kernarg_segment_align: 8
    .kernarg_segment_size: 384
    .language:       OpenCL C
    .language_version:
      - 2
      - 0
    .max_flat_workgroup_size: 1024
    .name:           _ZL24rocblas_symm_hemm_kernelILb0ELb0ELi32EPK19rocblas_complex_numIfES3_PS1_EvbiiT2_T3_lllS6_lllT4_llli
    .private_segment_fixed_size: 0
    .sgpr_count:     46
    .sgpr_spill_count: 0
    .symbol:         _ZL24rocblas_symm_hemm_kernelILb0ELb0ELi32EPK19rocblas_complex_numIfES3_PS1_EvbiiT2_T3_lllS6_lllT4_llli.kd
    .uniform_work_group_size: 1
    .uses_dynamic_stack: false
    .vgpr_count:     47
    .vgpr_spill_count: 0
    .wavefront_size: 32
  - .args:
      - .offset:         0
        .size:           1
        .value_kind:     by_value
      - .offset:         4
        .size:           4
        .value_kind:     by_value
      - .offset:         8
        .size:           4
        .value_kind:     by_value
      - .address_space:  global
        .offset:         16
        .size:           8
        .value_kind:     global_buffer
      - .address_space:  global
        .offset:         24
        .size:           8
        .value_kind:     global_buffer
      - .offset:         32
        .size:           8
        .value_kind:     by_value
      - .offset:         40
        .size:           8
        .value_kind:     by_value
      - .offset:         48
        .size:           8
        .value_kind:     by_value
      - .address_space:  global
        .offset:         56
        .size:           8
        .value_kind:     global_buffer
      - .offset:         64
        .size:           8
        .value_kind:     by_value
      - .offset:         72
        .size:           8
        .value_kind:     by_value
      - .offset:         80
        .size:           8
        .value_kind:     by_value
      - .address_space:  global
        .offset:         88
        .size:           8
        .value_kind:     global_buffer
      - .offset:         96
        .size:           8
        .value_kind:     by_value
      - .offset:         104
        .size:           8
        .value_kind:     by_value
      - .offset:         112
        .size:           8
        .value_kind:     by_value
      - .offset:         120
        .size:           4
        .value_kind:     by_value
      - .offset:         128
        .size:           4
        .value_kind:     hidden_block_count_x
      - .offset:         132
        .size:           4
        .value_kind:     hidden_block_count_y
      - .offset:         136
        .size:           4
        .value_kind:     hidden_block_count_z
      - .offset:         140
        .size:           2
        .value_kind:     hidden_group_size_x
      - .offset:         142
        .size:           2
        .value_kind:     hidden_group_size_y
      - .offset:         144
        .size:           2
        .value_kind:     hidden_group_size_z
      - .offset:         146
        .size:           2
        .value_kind:     hidden_remainder_x
      - .offset:         148
        .size:           2
        .value_kind:     hidden_remainder_y
      - .offset:         150
        .size:           2
        .value_kind:     hidden_remainder_z
      - .offset:         168
        .size:           8
        .value_kind:     hidden_global_offset_x
      - .offset:         176
        .size:           8
        .value_kind:     hidden_global_offset_y
      - .offset:         184
        .size:           8
        .value_kind:     hidden_global_offset_z
      - .offset:         192
        .size:           2
        .value_kind:     hidden_grid_dims
    .group_segment_fixed_size: 16384
    .kernarg_segment_align: 8
    .kernarg_segment_size: 384
    .language:       OpenCL C
    .language_version:
      - 2
      - 0
    .max_flat_workgroup_size: 1024
    .name:           _ZL24rocblas_symm_hemm_kernelILb0ELb1ELi32EPK19rocblas_complex_numIfES3_PS1_EvbiiT2_T3_lllS6_lllT4_llli
    .private_segment_fixed_size: 0
    .sgpr_count:     44
    .sgpr_spill_count: 0
    .symbol:         _ZL24rocblas_symm_hemm_kernelILb0ELb1ELi32EPK19rocblas_complex_numIfES3_PS1_EvbiiT2_T3_lllS6_lllT4_llli.kd
    .uniform_work_group_size: 1
    .uses_dynamic_stack: false
    .vgpr_count:     50
    .vgpr_spill_count: 0
    .wavefront_size: 32
  - .args:
      - .offset:         0
        .size:           4
        .value_kind:     by_value
      - .offset:         4
        .size:           4
        .value_kind:     by_value
      - .offset:         8
        .size:           8
        .value_kind:     by_value
      - .address_space:  global
        .offset:         16
        .size:           8
        .value_kind:     global_buffer
      - .offset:         24
        .size:           8
        .value_kind:     by_value
      - .offset:         32
        .size:           8
        .value_kind:     by_value
      - .offset:         40
        .size:           8
        .value_kind:     by_value
      - .offset:         48
        .size:           4
        .value_kind:     by_value
      - .offset:         56
        .size:           4
        .value_kind:     hidden_block_count_x
      - .offset:         60
        .size:           4
        .value_kind:     hidden_block_count_y
      - .offset:         64
        .size:           4
        .value_kind:     hidden_block_count_z
      - .offset:         68
        .size:           2
        .value_kind:     hidden_group_size_x
      - .offset:         70
        .size:           2
        .value_kind:     hidden_group_size_y
      - .offset:         72
        .size:           2
        .value_kind:     hidden_group_size_z
      - .offset:         74
        .size:           2
        .value_kind:     hidden_remainder_x
      - .offset:         76
        .size:           2
        .value_kind:     hidden_remainder_y
      - .offset:         78
        .size:           2
        .value_kind:     hidden_remainder_z
      - .offset:         96
        .size:           8
        .value_kind:     hidden_global_offset_x
      - .offset:         104
        .size:           8
        .value_kind:     hidden_global_offset_y
      - .offset:         112
        .size:           8
        .value_kind:     hidden_global_offset_z
      - .offset:         120
        .size:           2
        .value_kind:     hidden_grid_dims
    .group_segment_fixed_size: 0
    .kernarg_segment_align: 8
    .kernarg_segment_size: 312
    .language:       OpenCL C
    .language_version:
      - 2
      - 0
    .max_flat_workgroup_size: 1024
    .name:           _ZL25rocblas_symm_scale_kernelILi128ELi8E19rocblas_complex_numIfEPS1_EviiT1_T2_llli
    .private_segment_fixed_size: 0
    .sgpr_count:     24
    .sgpr_spill_count: 0
    .symbol:         _ZL25rocblas_symm_scale_kernelILi128ELi8E19rocblas_complex_numIfEPS1_EviiT1_T2_llli.kd
    .uniform_work_group_size: 1
    .uses_dynamic_stack: false
    .vgpr_count:     16
    .vgpr_spill_count: 0
    .wavefront_size: 32
  - .args:
      - .offset:         0
        .size:           1
        .value_kind:     by_value
      - .offset:         4
        .size:           4
        .value_kind:     by_value
      - .offset:         8
        .size:           4
        .value_kind:     by_value
      - .offset:         12
        .size:           8
        .value_kind:     by_value
      - .address_space:  global
        .offset:         24
        .size:           8
        .value_kind:     global_buffer
      - .offset:         32
        .size:           8
        .value_kind:     by_value
      - .offset:         40
        .size:           8
        .value_kind:     by_value
      - .offset:         48
        .size:           8
        .value_kind:     by_value
      - .address_space:  global
        .offset:         56
        .size:           8
        .value_kind:     global_buffer
      - .offset:         64
        .size:           8
        .value_kind:     by_value
      - .offset:         72
        .size:           8
        .value_kind:     by_value
      - .offset:         80
        .size:           8
        .value_kind:     by_value
      - .address_space:  global
        .offset:         88
        .size:           8
        .value_kind:     global_buffer
      - .offset:         96
        .size:           8
        .value_kind:     by_value
      - .offset:         104
        .size:           8
        .value_kind:     by_value
      - .offset:         112
        .size:           8
        .value_kind:     by_value
      - .offset:         120
        .size:           4
        .value_kind:     by_value
      - .offset:         128
        .size:           4
        .value_kind:     hidden_block_count_x
      - .offset:         132
        .size:           4
        .value_kind:     hidden_block_count_y
      - .offset:         136
        .size:           4
        .value_kind:     hidden_block_count_z
      - .offset:         140
        .size:           2
        .value_kind:     hidden_group_size_x
      - .offset:         142
        .size:           2
        .value_kind:     hidden_group_size_y
      - .offset:         144
        .size:           2
        .value_kind:     hidden_group_size_z
      - .offset:         146
        .size:           2
        .value_kind:     hidden_remainder_x
      - .offset:         148
        .size:           2
        .value_kind:     hidden_remainder_y
      - .offset:         150
        .size:           2
        .value_kind:     hidden_remainder_z
      - .offset:         168
        .size:           8
        .value_kind:     hidden_global_offset_x
      - .offset:         176
        .size:           8
        .value_kind:     hidden_global_offset_y
      - .offset:         184
        .size:           8
        .value_kind:     hidden_global_offset_z
      - .offset:         192
        .size:           2
        .value_kind:     hidden_grid_dims
    .group_segment_fixed_size: 16384
    .kernarg_segment_align: 8
    .kernarg_segment_size: 384
    .language:       OpenCL C
    .language_version:
      - 2
      - 0
    .max_flat_workgroup_size: 1024
    .name:           _ZL24rocblas_symm_hemm_kernelILb0ELb0ELi32E19rocblas_complex_numIfEPKS1_PS1_EvbiiT2_T3_lllS6_lllT4_llli
    .private_segment_fixed_size: 0
    .sgpr_count:     46
    .sgpr_spill_count: 0
    .symbol:         _ZL24rocblas_symm_hemm_kernelILb0ELb0ELi32E19rocblas_complex_numIfEPKS1_PS1_EvbiiT2_T3_lllS6_lllT4_llli.kd
    .uniform_work_group_size: 1
    .uses_dynamic_stack: false
    .vgpr_count:     47
    .vgpr_spill_count: 0
    .wavefront_size: 32
  - .args:
      - .offset:         0
        .size:           1
        .value_kind:     by_value
      - .offset:         4
        .size:           4
        .value_kind:     by_value
      - .offset:         8
        .size:           4
        .value_kind:     by_value
      - .offset:         12
        .size:           8
        .value_kind:     by_value
      - .address_space:  global
        .offset:         24
        .size:           8
        .value_kind:     global_buffer
      - .offset:         32
        .size:           8
        .value_kind:     by_value
      - .offset:         40
        .size:           8
        .value_kind:     by_value
      - .offset:         48
        .size:           8
        .value_kind:     by_value
      - .address_space:  global
        .offset:         56
        .size:           8
        .value_kind:     global_buffer
      - .offset:         64
        .size:           8
        .value_kind:     by_value
      - .offset:         72
        .size:           8
        .value_kind:     by_value
      - .offset:         80
        .size:           8
        .value_kind:     by_value
      - .address_space:  global
        .offset:         88
        .size:           8
        .value_kind:     global_buffer
      - .offset:         96
        .size:           8
        .value_kind:     by_value
      - .offset:         104
        .size:           8
        .value_kind:     by_value
      - .offset:         112
        .size:           8
        .value_kind:     by_value
      - .offset:         120
        .size:           4
        .value_kind:     by_value
      - .offset:         128
        .size:           4
        .value_kind:     hidden_block_count_x
      - .offset:         132
        .size:           4
        .value_kind:     hidden_block_count_y
      - .offset:         136
        .size:           4
        .value_kind:     hidden_block_count_z
      - .offset:         140
        .size:           2
        .value_kind:     hidden_group_size_x
      - .offset:         142
        .size:           2
        .value_kind:     hidden_group_size_y
      - .offset:         144
        .size:           2
        .value_kind:     hidden_group_size_z
      - .offset:         146
        .size:           2
        .value_kind:     hidden_remainder_x
      - .offset:         148
        .size:           2
        .value_kind:     hidden_remainder_y
      - .offset:         150
        .size:           2
        .value_kind:     hidden_remainder_z
      - .offset:         168
        .size:           8
        .value_kind:     hidden_global_offset_x
      - .offset:         176
        .size:           8
        .value_kind:     hidden_global_offset_y
      - .offset:         184
        .size:           8
        .value_kind:     hidden_global_offset_z
      - .offset:         192
        .size:           2
        .value_kind:     hidden_grid_dims
    .group_segment_fixed_size: 16384
    .kernarg_segment_align: 8
    .kernarg_segment_size: 384
    .language:       OpenCL C
    .language_version:
      - 2
      - 0
    .max_flat_workgroup_size: 1024
    .name:           _ZL24rocblas_symm_hemm_kernelILb0ELb1ELi32E19rocblas_complex_numIfEPKS1_PS1_EvbiiT2_T3_lllS6_lllT4_llli
    .private_segment_fixed_size: 0
    .sgpr_count:     44
    .sgpr_spill_count: 0
    .symbol:         _ZL24rocblas_symm_hemm_kernelILb0ELb1ELi32E19rocblas_complex_numIfEPKS1_PS1_EvbiiT2_T3_lllS6_lllT4_llli.kd
    .uniform_work_group_size: 1
    .uses_dynamic_stack: false
    .vgpr_count:     50
    .vgpr_spill_count: 0
    .wavefront_size: 32
  - .args:
      - .offset:         0
        .size:           4
        .value_kind:     by_value
      - .offset:         4
        .size:           4
        .value_kind:     by_value
      - .address_space:  global
        .offset:         8
        .size:           8
        .value_kind:     global_buffer
      - .address_space:  global
        .offset:         16
        .size:           8
        .value_kind:     global_buffer
      - .offset:         24
        .size:           8
        .value_kind:     by_value
      - .offset:         32
        .size:           8
        .value_kind:     by_value
      - .offset:         40
        .size:           8
        .value_kind:     by_value
      - .offset:         48
        .size:           4
        .value_kind:     by_value
      - .offset:         56
        .size:           4
        .value_kind:     hidden_block_count_x
      - .offset:         60
        .size:           4
        .value_kind:     hidden_block_count_y
      - .offset:         64
        .size:           4
        .value_kind:     hidden_block_count_z
      - .offset:         68
        .size:           2
        .value_kind:     hidden_group_size_x
      - .offset:         70
        .size:           2
        .value_kind:     hidden_group_size_y
      - .offset:         72
        .size:           2
        .value_kind:     hidden_group_size_z
      - .offset:         74
        .size:           2
        .value_kind:     hidden_remainder_x
      - .offset:         76
        .size:           2
        .value_kind:     hidden_remainder_y
      - .offset:         78
        .size:           2
        .value_kind:     hidden_remainder_z
      - .offset:         96
        .size:           8
        .value_kind:     hidden_global_offset_x
      - .offset:         104
        .size:           8
        .value_kind:     hidden_global_offset_y
      - .offset:         112
        .size:           8
        .value_kind:     hidden_global_offset_z
      - .offset:         120
        .size:           2
        .value_kind:     hidden_grid_dims
    .group_segment_fixed_size: 0
    .kernarg_segment_align: 8
    .kernarg_segment_size: 312
    .language:       OpenCL C
    .language_version:
      - 2
      - 0
    .max_flat_workgroup_size: 1024
    .name:           _ZL25rocblas_symm_scale_kernelILi128ELi8EPK19rocblas_complex_numIdEPS1_EviiT1_T2_llli
    .private_segment_fixed_size: 0
    .sgpr_count:     25
    .sgpr_spill_count: 0
    .symbol:         _ZL25rocblas_symm_scale_kernelILi128ELi8EPK19rocblas_complex_numIdEPS1_EviiT1_T2_llli.kd
    .uniform_work_group_size: 1
    .uses_dynamic_stack: false
    .vgpr_count:     16
    .vgpr_spill_count: 0
    .wavefront_size: 32
  - .args:
      - .offset:         0
        .size:           1
        .value_kind:     by_value
      - .offset:         4
        .size:           4
        .value_kind:     by_value
      - .offset:         8
        .size:           4
        .value_kind:     by_value
      - .address_space:  global
        .offset:         16
        .size:           8
        .value_kind:     global_buffer
      - .address_space:  global
        .offset:         24
        .size:           8
        .value_kind:     global_buffer
      - .offset:         32
        .size:           8
        .value_kind:     by_value
      - .offset:         40
        .size:           8
        .value_kind:     by_value
      - .offset:         48
        .size:           8
        .value_kind:     by_value
      - .address_space:  global
        .offset:         56
        .size:           8
        .value_kind:     global_buffer
      - .offset:         64
        .size:           8
        .value_kind:     by_value
      - .offset:         72
        .size:           8
        .value_kind:     by_value
      - .offset:         80
        .size:           8
        .value_kind:     by_value
      - .address_space:  global
        .offset:         88
        .size:           8
        .value_kind:     global_buffer
      - .offset:         96
        .size:           8
        .value_kind:     by_value
      - .offset:         104
        .size:           8
        .value_kind:     by_value
      - .offset:         112
        .size:           8
        .value_kind:     by_value
      - .offset:         120
        .size:           4
        .value_kind:     by_value
      - .offset:         128
        .size:           4
        .value_kind:     hidden_block_count_x
      - .offset:         132
        .size:           4
        .value_kind:     hidden_block_count_y
      - .offset:         136
        .size:           4
        .value_kind:     hidden_block_count_z
      - .offset:         140
        .size:           2
        .value_kind:     hidden_group_size_x
      - .offset:         142
        .size:           2
        .value_kind:     hidden_group_size_y
      - .offset:         144
        .size:           2
        .value_kind:     hidden_group_size_z
      - .offset:         146
        .size:           2
        .value_kind:     hidden_remainder_x
      - .offset:         148
        .size:           2
        .value_kind:     hidden_remainder_y
      - .offset:         150
        .size:           2
        .value_kind:     hidden_remainder_z
      - .offset:         168
        .size:           8
        .value_kind:     hidden_global_offset_x
      - .offset:         176
        .size:           8
        .value_kind:     hidden_global_offset_y
      - .offset:         184
        .size:           8
        .value_kind:     hidden_global_offset_z
      - .offset:         192
        .size:           2
        .value_kind:     hidden_grid_dims
    .group_segment_fixed_size: 32768
    .kernarg_segment_align: 8
    .kernarg_segment_size: 384
    .language:       OpenCL C
    .language_version:
      - 2
      - 0
    .max_flat_workgroup_size: 1024
    .name:           _ZL24rocblas_symm_hemm_kernelILb0ELb0ELi32EPK19rocblas_complex_numIdES3_PS1_EvbiiT2_T3_lllS6_lllT4_llli
    .private_segment_fixed_size: 0
    .sgpr_count:     46
    .sgpr_spill_count: 0
    .symbol:         _ZL24rocblas_symm_hemm_kernelILb0ELb0ELi32EPK19rocblas_complex_numIdES3_PS1_EvbiiT2_T3_lllS6_lllT4_llli.kd
    .uniform_work_group_size: 1
    .uses_dynamic_stack: false
    .vgpr_count:     56
    .vgpr_spill_count: 0
    .wavefront_size: 32
  - .args:
      - .offset:         0
        .size:           1
        .value_kind:     by_value
      - .offset:         4
        .size:           4
        .value_kind:     by_value
      - .offset:         8
        .size:           4
        .value_kind:     by_value
      - .address_space:  global
        .offset:         16
        .size:           8
        .value_kind:     global_buffer
      - .address_space:  global
        .offset:         24
        .size:           8
        .value_kind:     global_buffer
      - .offset:         32
        .size:           8
        .value_kind:     by_value
      - .offset:         40
        .size:           8
        .value_kind:     by_value
      - .offset:         48
        .size:           8
        .value_kind:     by_value
      - .address_space:  global
        .offset:         56
        .size:           8
        .value_kind:     global_buffer
      - .offset:         64
        .size:           8
        .value_kind:     by_value
      - .offset:         72
        .size:           8
        .value_kind:     by_value
      - .offset:         80
        .size:           8
        .value_kind:     by_value
      - .address_space:  global
        .offset:         88
        .size:           8
        .value_kind:     global_buffer
      - .offset:         96
        .size:           8
        .value_kind:     by_value
      - .offset:         104
        .size:           8
        .value_kind:     by_value
      - .offset:         112
        .size:           8
        .value_kind:     by_value
      - .offset:         120
        .size:           4
        .value_kind:     by_value
      - .offset:         128
        .size:           4
        .value_kind:     hidden_block_count_x
      - .offset:         132
        .size:           4
        .value_kind:     hidden_block_count_y
      - .offset:         136
        .size:           4
        .value_kind:     hidden_block_count_z
      - .offset:         140
        .size:           2
        .value_kind:     hidden_group_size_x
      - .offset:         142
        .size:           2
        .value_kind:     hidden_group_size_y
      - .offset:         144
        .size:           2
        .value_kind:     hidden_group_size_z
      - .offset:         146
        .size:           2
        .value_kind:     hidden_remainder_x
      - .offset:         148
        .size:           2
        .value_kind:     hidden_remainder_y
      - .offset:         150
        .size:           2
        .value_kind:     hidden_remainder_z
      - .offset:         168
        .size:           8
        .value_kind:     hidden_global_offset_x
      - .offset:         176
        .size:           8
        .value_kind:     hidden_global_offset_y
      - .offset:         184
        .size:           8
        .value_kind:     hidden_global_offset_z
      - .offset:         192
        .size:           2
        .value_kind:     hidden_grid_dims
    .group_segment_fixed_size: 32768
    .kernarg_segment_align: 8
    .kernarg_segment_size: 384
    .language:       OpenCL C
    .language_version:
      - 2
      - 0
    .max_flat_workgroup_size: 1024
    .name:           _ZL24rocblas_symm_hemm_kernelILb0ELb1ELi32EPK19rocblas_complex_numIdES3_PS1_EvbiiT2_T3_lllS6_lllT4_llli
    .private_segment_fixed_size: 0
    .sgpr_count:     45
    .sgpr_spill_count: 0
    .symbol:         _ZL24rocblas_symm_hemm_kernelILb0ELb1ELi32EPK19rocblas_complex_numIdES3_PS1_EvbiiT2_T3_lllS6_lllT4_llli.kd
    .uniform_work_group_size: 1
    .uses_dynamic_stack: false
    .vgpr_count:     58
    .vgpr_spill_count: 0
    .wavefront_size: 32
  - .args:
      - .offset:         0
        .size:           4
        .value_kind:     by_value
      - .offset:         4
        .size:           4
        .value_kind:     by_value
      - .offset:         8
        .size:           16
        .value_kind:     by_value
      - .address_space:  global
        .offset:         24
        .size:           8
        .value_kind:     global_buffer
      - .offset:         32
        .size:           8
        .value_kind:     by_value
      - .offset:         40
        .size:           8
        .value_kind:     by_value
      - .offset:         48
        .size:           8
        .value_kind:     by_value
      - .offset:         56
        .size:           4
        .value_kind:     by_value
      - .offset:         64
        .size:           4
        .value_kind:     hidden_block_count_x
      - .offset:         68
        .size:           4
        .value_kind:     hidden_block_count_y
      - .offset:         72
        .size:           4
        .value_kind:     hidden_block_count_z
      - .offset:         76
        .size:           2
        .value_kind:     hidden_group_size_x
      - .offset:         78
        .size:           2
        .value_kind:     hidden_group_size_y
      - .offset:         80
        .size:           2
        .value_kind:     hidden_group_size_z
      - .offset:         82
        .size:           2
        .value_kind:     hidden_remainder_x
      - .offset:         84
        .size:           2
        .value_kind:     hidden_remainder_y
      - .offset:         86
        .size:           2
        .value_kind:     hidden_remainder_z
      - .offset:         104
        .size:           8
        .value_kind:     hidden_global_offset_x
      - .offset:         112
        .size:           8
        .value_kind:     hidden_global_offset_y
      - .offset:         120
        .size:           8
        .value_kind:     hidden_global_offset_z
      - .offset:         128
        .size:           2
        .value_kind:     hidden_grid_dims
    .group_segment_fixed_size: 0
    .kernarg_segment_align: 8
    .kernarg_segment_size: 320
    .language:       OpenCL C
    .language_version:
      - 2
      - 0
    .max_flat_workgroup_size: 1024
    .name:           _ZL25rocblas_symm_scale_kernelILi128ELi8E19rocblas_complex_numIdEPS1_EviiT1_T2_llli
    .private_segment_fixed_size: 0
    .sgpr_count:     25
    .sgpr_spill_count: 0
    .symbol:         _ZL25rocblas_symm_scale_kernelILi128ELi8E19rocblas_complex_numIdEPS1_EviiT1_T2_llli.kd
    .uniform_work_group_size: 1
    .uses_dynamic_stack: false
    .vgpr_count:     16
    .vgpr_spill_count: 0
    .wavefront_size: 32
  - .args:
      - .offset:         0
        .size:           1
        .value_kind:     by_value
      - .offset:         4
        .size:           4
        .value_kind:     by_value
      - .offset:         8
        .size:           4
        .value_kind:     by_value
      - .offset:         16
        .size:           16
        .value_kind:     by_value
      - .address_space:  global
        .offset:         32
        .size:           8
        .value_kind:     global_buffer
      - .offset:         40
        .size:           8
        .value_kind:     by_value
      - .offset:         48
        .size:           8
        .value_kind:     by_value
      - .offset:         56
        .size:           8
        .value_kind:     by_value
      - .address_space:  global
        .offset:         64
        .size:           8
        .value_kind:     global_buffer
      - .offset:         72
        .size:           8
        .value_kind:     by_value
      - .offset:         80
        .size:           8
        .value_kind:     by_value
      - .offset:         88
        .size:           8
        .value_kind:     by_value
      - .address_space:  global
        .offset:         96
        .size:           8
        .value_kind:     global_buffer
      - .offset:         104
        .size:           8
        .value_kind:     by_value
      - .offset:         112
        .size:           8
        .value_kind:     by_value
      - .offset:         120
        .size:           8
        .value_kind:     by_value
      - .offset:         128
        .size:           4
        .value_kind:     by_value
      - .offset:         136
        .size:           4
        .value_kind:     hidden_block_count_x
      - .offset:         140
        .size:           4
        .value_kind:     hidden_block_count_y
      - .offset:         144
        .size:           4
        .value_kind:     hidden_block_count_z
      - .offset:         148
        .size:           2
        .value_kind:     hidden_group_size_x
      - .offset:         150
        .size:           2
        .value_kind:     hidden_group_size_y
      - .offset:         152
        .size:           2
        .value_kind:     hidden_group_size_z
      - .offset:         154
        .size:           2
        .value_kind:     hidden_remainder_x
      - .offset:         156
        .size:           2
        .value_kind:     hidden_remainder_y
      - .offset:         158
        .size:           2
        .value_kind:     hidden_remainder_z
      - .offset:         176
        .size:           8
        .value_kind:     hidden_global_offset_x
      - .offset:         184
        .size:           8
        .value_kind:     hidden_global_offset_y
      - .offset:         192
        .size:           8
        .value_kind:     hidden_global_offset_z
      - .offset:         200
        .size:           2
        .value_kind:     hidden_grid_dims
    .group_segment_fixed_size: 32768
    .kernarg_segment_align: 8
    .kernarg_segment_size: 392
    .language:       OpenCL C
    .language_version:
      - 2
      - 0
    .max_flat_workgroup_size: 1024
    .name:           _ZL24rocblas_symm_hemm_kernelILb0ELb0ELi32E19rocblas_complex_numIdEPKS1_PS1_EvbiiT2_T3_lllS6_lllT4_llli
    .private_segment_fixed_size: 0
    .sgpr_count:     46
    .sgpr_spill_count: 0
    .symbol:         _ZL24rocblas_symm_hemm_kernelILb0ELb0ELi32E19rocblas_complex_numIdEPKS1_PS1_EvbiiT2_T3_lllS6_lllT4_llli.kd
    .uniform_work_group_size: 1
    .uses_dynamic_stack: false
    .vgpr_count:     56
    .vgpr_spill_count: 0
    .wavefront_size: 32
  - .args:
      - .offset:         0
        .size:           1
        .value_kind:     by_value
      - .offset:         4
        .size:           4
        .value_kind:     by_value
      - .offset:         8
        .size:           4
        .value_kind:     by_value
      - .offset:         16
        .size:           16
        .value_kind:     by_value
      - .address_space:  global
        .offset:         32
        .size:           8
        .value_kind:     global_buffer
      - .offset:         40
        .size:           8
        .value_kind:     by_value
      - .offset:         48
        .size:           8
        .value_kind:     by_value
      - .offset:         56
        .size:           8
        .value_kind:     by_value
      - .address_space:  global
        .offset:         64
        .size:           8
        .value_kind:     global_buffer
      - .offset:         72
        .size:           8
        .value_kind:     by_value
      - .offset:         80
        .size:           8
        .value_kind:     by_value
      - .offset:         88
        .size:           8
        .value_kind:     by_value
      - .address_space:  global
        .offset:         96
        .size:           8
        .value_kind:     global_buffer
      - .offset:         104
        .size:           8
        .value_kind:     by_value
      - .offset:         112
        .size:           8
        .value_kind:     by_value
      - .offset:         120
        .size:           8
        .value_kind:     by_value
      - .offset:         128
        .size:           4
        .value_kind:     by_value
      - .offset:         136
        .size:           4
        .value_kind:     hidden_block_count_x
      - .offset:         140
        .size:           4
        .value_kind:     hidden_block_count_y
      - .offset:         144
        .size:           4
        .value_kind:     hidden_block_count_z
      - .offset:         148
        .size:           2
        .value_kind:     hidden_group_size_x
      - .offset:         150
        .size:           2
        .value_kind:     hidden_group_size_y
      - .offset:         152
        .size:           2
        .value_kind:     hidden_group_size_z
      - .offset:         154
        .size:           2
        .value_kind:     hidden_remainder_x
      - .offset:         156
        .size:           2
        .value_kind:     hidden_remainder_y
      - .offset:         158
        .size:           2
        .value_kind:     hidden_remainder_z
      - .offset:         176
        .size:           8
        .value_kind:     hidden_global_offset_x
      - .offset:         184
        .size:           8
        .value_kind:     hidden_global_offset_y
      - .offset:         192
        .size:           8
        .value_kind:     hidden_global_offset_z
      - .offset:         200
        .size:           2
        .value_kind:     hidden_grid_dims
    .group_segment_fixed_size: 32768
    .kernarg_segment_align: 8
    .kernarg_segment_size: 392
    .language:       OpenCL C
    .language_version:
      - 2
      - 0
    .max_flat_workgroup_size: 1024
    .name:           _ZL24rocblas_symm_hemm_kernelILb0ELb1ELi32E19rocblas_complex_numIdEPKS1_PS1_EvbiiT2_T3_lllS6_lllT4_llli
    .private_segment_fixed_size: 0
    .sgpr_count:     44
    .sgpr_spill_count: 0
    .symbol:         _ZL24rocblas_symm_hemm_kernelILb0ELb1ELi32E19rocblas_complex_numIdEPKS1_PS1_EvbiiT2_T3_lllS6_lllT4_llli.kd
    .uniform_work_group_size: 1
    .uses_dynamic_stack: false
    .vgpr_count:     58
    .vgpr_spill_count: 0
    .wavefront_size: 32
  - .args:
      - .offset:         0
        .size:           1
        .value_kind:     by_value
      - .offset:         4
        .size:           4
        .value_kind:     by_value
      - .offset:         8
        .size:           4
        .value_kind:     by_value
      - .address_space:  global
        .offset:         16
        .size:           8
        .value_kind:     global_buffer
      - .address_space:  global
        .offset:         24
        .size:           8
        .value_kind:     global_buffer
      - .offset:         32
        .size:           8
        .value_kind:     by_value
      - .offset:         40
        .size:           8
        .value_kind:     by_value
      - .offset:         48
        .size:           8
        .value_kind:     by_value
      - .address_space:  global
        .offset:         56
        .size:           8
        .value_kind:     global_buffer
      - .offset:         64
        .size:           8
        .value_kind:     by_value
      - .offset:         72
        .size:           8
        .value_kind:     by_value
      - .offset:         80
        .size:           8
        .value_kind:     by_value
      - .address_space:  global
        .offset:         88
        .size:           8
        .value_kind:     global_buffer
      - .offset:         96
        .size:           8
        .value_kind:     by_value
      - .offset:         104
        .size:           8
        .value_kind:     by_value
      - .offset:         112
        .size:           8
        .value_kind:     by_value
      - .offset:         120
        .size:           4
        .value_kind:     by_value
      - .offset:         128
        .size:           4
        .value_kind:     hidden_block_count_x
      - .offset:         132
        .size:           4
        .value_kind:     hidden_block_count_y
      - .offset:         136
        .size:           4
        .value_kind:     hidden_block_count_z
      - .offset:         140
        .size:           2
        .value_kind:     hidden_group_size_x
      - .offset:         142
        .size:           2
        .value_kind:     hidden_group_size_y
      - .offset:         144
        .size:           2
        .value_kind:     hidden_group_size_z
      - .offset:         146
        .size:           2
        .value_kind:     hidden_remainder_x
      - .offset:         148
        .size:           2
        .value_kind:     hidden_remainder_y
      - .offset:         150
        .size:           2
        .value_kind:     hidden_remainder_z
      - .offset:         168
        .size:           8
        .value_kind:     hidden_global_offset_x
      - .offset:         176
        .size:           8
        .value_kind:     hidden_global_offset_y
      - .offset:         184
        .size:           8
        .value_kind:     hidden_global_offset_z
      - .offset:         192
        .size:           2
        .value_kind:     hidden_grid_dims
    .group_segment_fixed_size: 16384
    .kernarg_segment_align: 8
    .kernarg_segment_size: 384
    .language:       OpenCL C
    .language_version:
      - 2
      - 0
    .max_flat_workgroup_size: 1024
    .name:           _ZL24rocblas_symm_hemm_kernelILb1ELb0ELi32EPK19rocblas_complex_numIfES3_PS1_EvbiiT2_T3_lllS6_lllT4_llli
    .private_segment_fixed_size: 0
    .sgpr_count:     46
    .sgpr_spill_count: 0
    .symbol:         _ZL24rocblas_symm_hemm_kernelILb1ELb0ELi32EPK19rocblas_complex_numIfES3_PS1_EvbiiT2_T3_lllS6_lllT4_llli.kd
    .uniform_work_group_size: 1
    .uses_dynamic_stack: false
    .vgpr_count:     56
    .vgpr_spill_count: 0
    .wavefront_size: 32
  - .args:
      - .offset:         0
        .size:           1
        .value_kind:     by_value
      - .offset:         4
        .size:           4
        .value_kind:     by_value
      - .offset:         8
        .size:           4
        .value_kind:     by_value
      - .address_space:  global
        .offset:         16
        .size:           8
        .value_kind:     global_buffer
      - .address_space:  global
        .offset:         24
        .size:           8
        .value_kind:     global_buffer
      - .offset:         32
        .size:           8
        .value_kind:     by_value
      - .offset:         40
        .size:           8
        .value_kind:     by_value
      - .offset:         48
        .size:           8
        .value_kind:     by_value
      - .address_space:  global
        .offset:         56
        .size:           8
        .value_kind:     global_buffer
      - .offset:         64
        .size:           8
        .value_kind:     by_value
      - .offset:         72
        .size:           8
        .value_kind:     by_value
      - .offset:         80
        .size:           8
        .value_kind:     by_value
      - .address_space:  global
        .offset:         88
        .size:           8
        .value_kind:     global_buffer
      - .offset:         96
        .size:           8
        .value_kind:     by_value
      - .offset:         104
        .size:           8
        .value_kind:     by_value
      - .offset:         112
        .size:           8
        .value_kind:     by_value
      - .offset:         120
        .size:           4
        .value_kind:     by_value
      - .offset:         128
        .size:           4
        .value_kind:     hidden_block_count_x
      - .offset:         132
        .size:           4
        .value_kind:     hidden_block_count_y
      - .offset:         136
        .size:           4
        .value_kind:     hidden_block_count_z
      - .offset:         140
        .size:           2
        .value_kind:     hidden_group_size_x
      - .offset:         142
        .size:           2
        .value_kind:     hidden_group_size_y
      - .offset:         144
        .size:           2
        .value_kind:     hidden_group_size_z
      - .offset:         146
        .size:           2
        .value_kind:     hidden_remainder_x
      - .offset:         148
        .size:           2
        .value_kind:     hidden_remainder_y
      - .offset:         150
        .size:           2
        .value_kind:     hidden_remainder_z
      - .offset:         168
        .size:           8
        .value_kind:     hidden_global_offset_x
      - .offset:         176
        .size:           8
        .value_kind:     hidden_global_offset_y
      - .offset:         184
        .size:           8
        .value_kind:     hidden_global_offset_z
      - .offset:         192
        .size:           2
        .value_kind:     hidden_grid_dims
    .group_segment_fixed_size: 16384
    .kernarg_segment_align: 8
    .kernarg_segment_size: 384
    .language:       OpenCL C
    .language_version:
      - 2
      - 0
    .max_flat_workgroup_size: 1024
    .name:           _ZL24rocblas_symm_hemm_kernelILb1ELb1ELi32EPK19rocblas_complex_numIfES3_PS1_EvbiiT2_T3_lllS6_lllT4_llli
    .private_segment_fixed_size: 0
    .sgpr_count:     45
    .sgpr_spill_count: 0
    .symbol:         _ZL24rocblas_symm_hemm_kernelILb1ELb1ELi32EPK19rocblas_complex_numIfES3_PS1_EvbiiT2_T3_lllS6_lllT4_llli.kd
    .uniform_work_group_size: 1
    .uses_dynamic_stack: false
    .vgpr_count:     58
    .vgpr_spill_count: 0
    .wavefront_size: 32
  - .args:
      - .offset:         0
        .size:           1
        .value_kind:     by_value
      - .offset:         4
        .size:           4
        .value_kind:     by_value
      - .offset:         8
        .size:           4
        .value_kind:     by_value
      - .offset:         12
        .size:           8
        .value_kind:     by_value
      - .address_space:  global
        .offset:         24
        .size:           8
        .value_kind:     global_buffer
      - .offset:         32
        .size:           8
        .value_kind:     by_value
      - .offset:         40
        .size:           8
        .value_kind:     by_value
      - .offset:         48
        .size:           8
        .value_kind:     by_value
      - .address_space:  global
        .offset:         56
        .size:           8
        .value_kind:     global_buffer
      - .offset:         64
        .size:           8
        .value_kind:     by_value
      - .offset:         72
        .size:           8
        .value_kind:     by_value
      - .offset:         80
        .size:           8
        .value_kind:     by_value
      - .address_space:  global
        .offset:         88
        .size:           8
        .value_kind:     global_buffer
      - .offset:         96
        .size:           8
        .value_kind:     by_value
      - .offset:         104
        .size:           8
        .value_kind:     by_value
      - .offset:         112
        .size:           8
        .value_kind:     by_value
      - .offset:         120
        .size:           4
        .value_kind:     by_value
      - .offset:         128
        .size:           4
        .value_kind:     hidden_block_count_x
      - .offset:         132
        .size:           4
        .value_kind:     hidden_block_count_y
      - .offset:         136
        .size:           4
        .value_kind:     hidden_block_count_z
      - .offset:         140
        .size:           2
        .value_kind:     hidden_group_size_x
      - .offset:         142
        .size:           2
        .value_kind:     hidden_group_size_y
      - .offset:         144
        .size:           2
        .value_kind:     hidden_group_size_z
      - .offset:         146
        .size:           2
        .value_kind:     hidden_remainder_x
      - .offset:         148
        .size:           2
        .value_kind:     hidden_remainder_y
      - .offset:         150
        .size:           2
        .value_kind:     hidden_remainder_z
      - .offset:         168
        .size:           8
        .value_kind:     hidden_global_offset_x
      - .offset:         176
        .size:           8
        .value_kind:     hidden_global_offset_y
      - .offset:         184
        .size:           8
        .value_kind:     hidden_global_offset_z
      - .offset:         192
        .size:           2
        .value_kind:     hidden_grid_dims
    .group_segment_fixed_size: 16384
    .kernarg_segment_align: 8
    .kernarg_segment_size: 384
    .language:       OpenCL C
    .language_version:
      - 2
      - 0
    .max_flat_workgroup_size: 1024
    .name:           _ZL24rocblas_symm_hemm_kernelILb1ELb0ELi32E19rocblas_complex_numIfEPKS1_PS1_EvbiiT2_T3_lllS6_lllT4_llli
    .private_segment_fixed_size: 0
    .sgpr_count:     46
    .sgpr_spill_count: 0
    .symbol:         _ZL24rocblas_symm_hemm_kernelILb1ELb0ELi32E19rocblas_complex_numIfEPKS1_PS1_EvbiiT2_T3_lllS6_lllT4_llli.kd
    .uniform_work_group_size: 1
    .uses_dynamic_stack: false
    .vgpr_count:     56
    .vgpr_spill_count: 0
    .wavefront_size: 32
  - .args:
      - .offset:         0
        .size:           1
        .value_kind:     by_value
      - .offset:         4
        .size:           4
        .value_kind:     by_value
      - .offset:         8
        .size:           4
        .value_kind:     by_value
      - .offset:         12
        .size:           8
        .value_kind:     by_value
      - .address_space:  global
        .offset:         24
        .size:           8
        .value_kind:     global_buffer
      - .offset:         32
        .size:           8
        .value_kind:     by_value
      - .offset:         40
        .size:           8
        .value_kind:     by_value
      - .offset:         48
        .size:           8
        .value_kind:     by_value
      - .address_space:  global
        .offset:         56
        .size:           8
        .value_kind:     global_buffer
      - .offset:         64
        .size:           8
        .value_kind:     by_value
      - .offset:         72
        .size:           8
        .value_kind:     by_value
      - .offset:         80
        .size:           8
        .value_kind:     by_value
      - .address_space:  global
        .offset:         88
        .size:           8
        .value_kind:     global_buffer
      - .offset:         96
        .size:           8
        .value_kind:     by_value
      - .offset:         104
        .size:           8
        .value_kind:     by_value
      - .offset:         112
        .size:           8
        .value_kind:     by_value
      - .offset:         120
        .size:           4
        .value_kind:     by_value
      - .offset:         128
        .size:           4
        .value_kind:     hidden_block_count_x
      - .offset:         132
        .size:           4
        .value_kind:     hidden_block_count_y
      - .offset:         136
        .size:           4
        .value_kind:     hidden_block_count_z
      - .offset:         140
        .size:           2
        .value_kind:     hidden_group_size_x
      - .offset:         142
        .size:           2
        .value_kind:     hidden_group_size_y
      - .offset:         144
        .size:           2
        .value_kind:     hidden_group_size_z
      - .offset:         146
        .size:           2
        .value_kind:     hidden_remainder_x
      - .offset:         148
        .size:           2
        .value_kind:     hidden_remainder_y
      - .offset:         150
        .size:           2
        .value_kind:     hidden_remainder_z
      - .offset:         168
        .size:           8
        .value_kind:     hidden_global_offset_x
      - .offset:         176
        .size:           8
        .value_kind:     hidden_global_offset_y
      - .offset:         184
        .size:           8
        .value_kind:     hidden_global_offset_z
      - .offset:         192
        .size:           2
        .value_kind:     hidden_grid_dims
    .group_segment_fixed_size: 16384
    .kernarg_segment_align: 8
    .kernarg_segment_size: 384
    .language:       OpenCL C
    .language_version:
      - 2
      - 0
    .max_flat_workgroup_size: 1024
    .name:           _ZL24rocblas_symm_hemm_kernelILb1ELb1ELi32E19rocblas_complex_numIfEPKS1_PS1_EvbiiT2_T3_lllS6_lllT4_llli
    .private_segment_fixed_size: 0
    .sgpr_count:     45
    .sgpr_spill_count: 0
    .symbol:         _ZL24rocblas_symm_hemm_kernelILb1ELb1ELi32E19rocblas_complex_numIfEPKS1_PS1_EvbiiT2_T3_lllS6_lllT4_llli.kd
    .uniform_work_group_size: 1
    .uses_dynamic_stack: false
    .vgpr_count:     58
    .vgpr_spill_count: 0
    .wavefront_size: 32
  - .args:
      - .offset:         0
        .size:           1
        .value_kind:     by_value
      - .offset:         4
        .size:           4
        .value_kind:     by_value
      - .offset:         8
        .size:           4
        .value_kind:     by_value
      - .address_space:  global
        .offset:         16
        .size:           8
        .value_kind:     global_buffer
      - .address_space:  global
        .offset:         24
        .size:           8
        .value_kind:     global_buffer
      - .offset:         32
        .size:           8
        .value_kind:     by_value
      - .offset:         40
        .size:           8
        .value_kind:     by_value
      - .offset:         48
        .size:           8
        .value_kind:     by_value
      - .address_space:  global
        .offset:         56
        .size:           8
        .value_kind:     global_buffer
      - .offset:         64
        .size:           8
        .value_kind:     by_value
      - .offset:         72
        .size:           8
        .value_kind:     by_value
      - .offset:         80
        .size:           8
        .value_kind:     by_value
      - .address_space:  global
        .offset:         88
        .size:           8
        .value_kind:     global_buffer
      - .offset:         96
        .size:           8
        .value_kind:     by_value
      - .offset:         104
        .size:           8
        .value_kind:     by_value
      - .offset:         112
        .size:           8
        .value_kind:     by_value
      - .offset:         120
        .size:           4
        .value_kind:     by_value
      - .offset:         128
        .size:           4
        .value_kind:     hidden_block_count_x
      - .offset:         132
        .size:           4
        .value_kind:     hidden_block_count_y
      - .offset:         136
        .size:           4
        .value_kind:     hidden_block_count_z
      - .offset:         140
        .size:           2
        .value_kind:     hidden_group_size_x
      - .offset:         142
        .size:           2
        .value_kind:     hidden_group_size_y
      - .offset:         144
        .size:           2
        .value_kind:     hidden_group_size_z
      - .offset:         146
        .size:           2
        .value_kind:     hidden_remainder_x
      - .offset:         148
        .size:           2
        .value_kind:     hidden_remainder_y
      - .offset:         150
        .size:           2
        .value_kind:     hidden_remainder_z
      - .offset:         168
        .size:           8
        .value_kind:     hidden_global_offset_x
      - .offset:         176
        .size:           8
        .value_kind:     hidden_global_offset_y
      - .offset:         184
        .size:           8
        .value_kind:     hidden_global_offset_z
      - .offset:         192
        .size:           2
        .value_kind:     hidden_grid_dims
    .group_segment_fixed_size: 32768
    .kernarg_segment_align: 8
    .kernarg_segment_size: 384
    .language:       OpenCL C
    .language_version:
      - 2
      - 0
    .max_flat_workgroup_size: 1024
    .name:           _ZL24rocblas_symm_hemm_kernelILb1ELb0ELi32EPK19rocblas_complex_numIdES3_PS1_EvbiiT2_T3_lllS6_lllT4_llli
    .private_segment_fixed_size: 0
    .sgpr_count:     46
    .sgpr_spill_count: 0
    .symbol:         _ZL24rocblas_symm_hemm_kernelILb1ELb0ELi32EPK19rocblas_complex_numIdES3_PS1_EvbiiT2_T3_lllS6_lllT4_llli.kd
    .uniform_work_group_size: 1
    .uses_dynamic_stack: false
    .vgpr_count:     62
    .vgpr_spill_count: 0
    .wavefront_size: 32
  - .args:
      - .offset:         0
        .size:           1
        .value_kind:     by_value
      - .offset:         4
        .size:           4
        .value_kind:     by_value
      - .offset:         8
        .size:           4
        .value_kind:     by_value
      - .address_space:  global
        .offset:         16
        .size:           8
        .value_kind:     global_buffer
      - .address_space:  global
        .offset:         24
        .size:           8
        .value_kind:     global_buffer
      - .offset:         32
        .size:           8
        .value_kind:     by_value
      - .offset:         40
        .size:           8
        .value_kind:     by_value
      - .offset:         48
        .size:           8
        .value_kind:     by_value
      - .address_space:  global
        .offset:         56
        .size:           8
        .value_kind:     global_buffer
      - .offset:         64
        .size:           8
        .value_kind:     by_value
      - .offset:         72
        .size:           8
        .value_kind:     by_value
      - .offset:         80
        .size:           8
        .value_kind:     by_value
      - .address_space:  global
        .offset:         88
        .size:           8
        .value_kind:     global_buffer
      - .offset:         96
        .size:           8
        .value_kind:     by_value
      - .offset:         104
        .size:           8
        .value_kind:     by_value
      - .offset:         112
        .size:           8
        .value_kind:     by_value
      - .offset:         120
        .size:           4
        .value_kind:     by_value
      - .offset:         128
        .size:           4
        .value_kind:     hidden_block_count_x
      - .offset:         132
        .size:           4
        .value_kind:     hidden_block_count_y
      - .offset:         136
        .size:           4
        .value_kind:     hidden_block_count_z
      - .offset:         140
        .size:           2
        .value_kind:     hidden_group_size_x
      - .offset:         142
        .size:           2
        .value_kind:     hidden_group_size_y
      - .offset:         144
        .size:           2
        .value_kind:     hidden_group_size_z
      - .offset:         146
        .size:           2
        .value_kind:     hidden_remainder_x
      - .offset:         148
        .size:           2
        .value_kind:     hidden_remainder_y
      - .offset:         150
        .size:           2
        .value_kind:     hidden_remainder_z
      - .offset:         168
        .size:           8
        .value_kind:     hidden_global_offset_x
      - .offset:         176
        .size:           8
        .value_kind:     hidden_global_offset_y
      - .offset:         184
        .size:           8
        .value_kind:     hidden_global_offset_z
      - .offset:         192
        .size:           2
        .value_kind:     hidden_grid_dims
    .group_segment_fixed_size: 32768
    .kernarg_segment_align: 8
    .kernarg_segment_size: 384
    .language:       OpenCL C
    .language_version:
      - 2
      - 0
    .max_flat_workgroup_size: 1024
    .name:           _ZL24rocblas_symm_hemm_kernelILb1ELb1ELi32EPK19rocblas_complex_numIdES3_PS1_EvbiiT2_T3_lllS6_lllT4_llli
    .private_segment_fixed_size: 0
    .sgpr_count:     45
    .sgpr_spill_count: 0
    .symbol:         _ZL24rocblas_symm_hemm_kernelILb1ELb1ELi32EPK19rocblas_complex_numIdES3_PS1_EvbiiT2_T3_lllS6_lllT4_llli.kd
    .uniform_work_group_size: 1
    .uses_dynamic_stack: false
    .vgpr_count:     64
    .vgpr_spill_count: 0
    .wavefront_size: 32
  - .args:
      - .offset:         0
        .size:           1
        .value_kind:     by_value
      - .offset:         4
        .size:           4
        .value_kind:     by_value
      - .offset:         8
        .size:           4
        .value_kind:     by_value
      - .offset:         16
        .size:           16
        .value_kind:     by_value
      - .address_space:  global
        .offset:         32
        .size:           8
        .value_kind:     global_buffer
      - .offset:         40
        .size:           8
        .value_kind:     by_value
      - .offset:         48
        .size:           8
        .value_kind:     by_value
      - .offset:         56
        .size:           8
        .value_kind:     by_value
      - .address_space:  global
        .offset:         64
        .size:           8
        .value_kind:     global_buffer
      - .offset:         72
        .size:           8
        .value_kind:     by_value
      - .offset:         80
        .size:           8
        .value_kind:     by_value
      - .offset:         88
        .size:           8
        .value_kind:     by_value
      - .address_space:  global
        .offset:         96
        .size:           8
        .value_kind:     global_buffer
      - .offset:         104
        .size:           8
        .value_kind:     by_value
      - .offset:         112
        .size:           8
        .value_kind:     by_value
      - .offset:         120
        .size:           8
        .value_kind:     by_value
      - .offset:         128
        .size:           4
        .value_kind:     by_value
      - .offset:         136
        .size:           4
        .value_kind:     hidden_block_count_x
      - .offset:         140
        .size:           4
        .value_kind:     hidden_block_count_y
      - .offset:         144
        .size:           4
        .value_kind:     hidden_block_count_z
      - .offset:         148
        .size:           2
        .value_kind:     hidden_group_size_x
      - .offset:         150
        .size:           2
        .value_kind:     hidden_group_size_y
      - .offset:         152
        .size:           2
        .value_kind:     hidden_group_size_z
      - .offset:         154
        .size:           2
        .value_kind:     hidden_remainder_x
      - .offset:         156
        .size:           2
        .value_kind:     hidden_remainder_y
      - .offset:         158
        .size:           2
        .value_kind:     hidden_remainder_z
      - .offset:         176
        .size:           8
        .value_kind:     hidden_global_offset_x
      - .offset:         184
        .size:           8
        .value_kind:     hidden_global_offset_y
      - .offset:         192
        .size:           8
        .value_kind:     hidden_global_offset_z
      - .offset:         200
        .size:           2
        .value_kind:     hidden_grid_dims
    .group_segment_fixed_size: 32768
    .kernarg_segment_align: 8
    .kernarg_segment_size: 392
    .language:       OpenCL C
    .language_version:
      - 2
      - 0
    .max_flat_workgroup_size: 1024
    .name:           _ZL24rocblas_symm_hemm_kernelILb1ELb0ELi32E19rocblas_complex_numIdEPKS1_PS1_EvbiiT2_T3_lllS6_lllT4_llli
    .private_segment_fixed_size: 0
    .sgpr_count:     46
    .sgpr_spill_count: 0
    .symbol:         _ZL24rocblas_symm_hemm_kernelILb1ELb0ELi32E19rocblas_complex_numIdEPKS1_PS1_EvbiiT2_T3_lllS6_lllT4_llli.kd
    .uniform_work_group_size: 1
    .uses_dynamic_stack: false
    .vgpr_count:     62
    .vgpr_spill_count: 0
    .wavefront_size: 32
  - .args:
      - .offset:         0
        .size:           1
        .value_kind:     by_value
      - .offset:         4
        .size:           4
        .value_kind:     by_value
      - .offset:         8
        .size:           4
        .value_kind:     by_value
      - .offset:         16
        .size:           16
        .value_kind:     by_value
      - .address_space:  global
        .offset:         32
        .size:           8
        .value_kind:     global_buffer
      - .offset:         40
        .size:           8
        .value_kind:     by_value
      - .offset:         48
        .size:           8
        .value_kind:     by_value
      - .offset:         56
        .size:           8
        .value_kind:     by_value
      - .address_space:  global
        .offset:         64
        .size:           8
        .value_kind:     global_buffer
      - .offset:         72
        .size:           8
        .value_kind:     by_value
      - .offset:         80
        .size:           8
        .value_kind:     by_value
      - .offset:         88
        .size:           8
        .value_kind:     by_value
      - .address_space:  global
        .offset:         96
        .size:           8
        .value_kind:     global_buffer
      - .offset:         104
        .size:           8
        .value_kind:     by_value
      - .offset:         112
        .size:           8
        .value_kind:     by_value
      - .offset:         120
        .size:           8
        .value_kind:     by_value
      - .offset:         128
        .size:           4
        .value_kind:     by_value
      - .offset:         136
        .size:           4
        .value_kind:     hidden_block_count_x
      - .offset:         140
        .size:           4
        .value_kind:     hidden_block_count_y
      - .offset:         144
        .size:           4
        .value_kind:     hidden_block_count_z
      - .offset:         148
        .size:           2
        .value_kind:     hidden_group_size_x
      - .offset:         150
        .size:           2
        .value_kind:     hidden_group_size_y
      - .offset:         152
        .size:           2
        .value_kind:     hidden_group_size_z
      - .offset:         154
        .size:           2
        .value_kind:     hidden_remainder_x
      - .offset:         156
        .size:           2
        .value_kind:     hidden_remainder_y
      - .offset:         158
        .size:           2
        .value_kind:     hidden_remainder_z
      - .offset:         176
        .size:           8
        .value_kind:     hidden_global_offset_x
      - .offset:         184
        .size:           8
        .value_kind:     hidden_global_offset_y
      - .offset:         192
        .size:           8
        .value_kind:     hidden_global_offset_z
      - .offset:         200
        .size:           2
        .value_kind:     hidden_grid_dims
    .group_segment_fixed_size: 32768
    .kernarg_segment_align: 8
    .kernarg_segment_size: 392
    .language:       OpenCL C
    .language_version:
      - 2
      - 0
    .max_flat_workgroup_size: 1024
    .name:           _ZL24rocblas_symm_hemm_kernelILb1ELb1ELi32E19rocblas_complex_numIdEPKS1_PS1_EvbiiT2_T3_lllS6_lllT4_llli
    .private_segment_fixed_size: 0
    .sgpr_count:     44
    .sgpr_spill_count: 0
    .symbol:         _ZL24rocblas_symm_hemm_kernelILb1ELb1ELi32E19rocblas_complex_numIdEPKS1_PS1_EvbiiT2_T3_lllS6_lllT4_llli.kd
    .uniform_work_group_size: 1
    .uses_dynamic_stack: false
    .vgpr_count:     64
    .vgpr_spill_count: 0
    .wavefront_size: 32
  - .args:
      - .offset:         0
        .size:           4
        .value_kind:     by_value
      - .offset:         4
        .size:           4
        .value_kind:     by_value
      - .address_space:  global
        .offset:         8
        .size:           8
        .value_kind:     global_buffer
      - .address_space:  global
        .offset:         16
        .size:           8
        .value_kind:     global_buffer
      - .offset:         24
        .size:           8
        .value_kind:     by_value
      - .offset:         32
        .size:           8
        .value_kind:     by_value
      - .offset:         40
        .size:           8
        .value_kind:     by_value
      - .offset:         48
        .size:           4
        .value_kind:     by_value
      - .offset:         56
        .size:           4
        .value_kind:     hidden_block_count_x
      - .offset:         60
        .size:           4
        .value_kind:     hidden_block_count_y
      - .offset:         64
        .size:           4
        .value_kind:     hidden_block_count_z
      - .offset:         68
        .size:           2
        .value_kind:     hidden_group_size_x
      - .offset:         70
        .size:           2
        .value_kind:     hidden_group_size_y
      - .offset:         72
        .size:           2
        .value_kind:     hidden_group_size_z
      - .offset:         74
        .size:           2
        .value_kind:     hidden_remainder_x
      - .offset:         76
        .size:           2
        .value_kind:     hidden_remainder_y
      - .offset:         78
        .size:           2
        .value_kind:     hidden_remainder_z
      - .offset:         96
        .size:           8
        .value_kind:     hidden_global_offset_x
      - .offset:         104
        .size:           8
        .value_kind:     hidden_global_offset_y
      - .offset:         112
        .size:           8
        .value_kind:     hidden_global_offset_z
      - .offset:         120
        .size:           2
        .value_kind:     hidden_grid_dims
    .group_segment_fixed_size: 0
    .kernarg_segment_align: 8
    .kernarg_segment_size: 312
    .language:       OpenCL C
    .language_version:
      - 2
      - 0
    .max_flat_workgroup_size: 1024
    .name:           _ZL25rocblas_symm_scale_kernelILi128ELi8EPKfPKPfEviiT1_T2_llli
    .private_segment_fixed_size: 0
    .sgpr_count:     21
    .sgpr_spill_count: 0
    .symbol:         _ZL25rocblas_symm_scale_kernelILi128ELi8EPKfPKPfEviiT1_T2_llli.kd
    .uniform_work_group_size: 1
    .uses_dynamic_stack: false
    .vgpr_count:     9
    .vgpr_spill_count: 0
    .wavefront_size: 32
  - .args:
      - .offset:         0
        .size:           1
        .value_kind:     by_value
      - .offset:         4
        .size:           4
        .value_kind:     by_value
      - .offset:         8
        .size:           4
        .value_kind:     by_value
      - .address_space:  global
        .offset:         16
        .size:           8
        .value_kind:     global_buffer
      - .address_space:  global
        .offset:         24
        .size:           8
        .value_kind:     global_buffer
      - .offset:         32
        .size:           8
        .value_kind:     by_value
      - .offset:         40
        .size:           8
        .value_kind:     by_value
      - .offset:         48
        .size:           8
        .value_kind:     by_value
      - .address_space:  global
        .offset:         56
        .size:           8
        .value_kind:     global_buffer
      - .offset:         64
        .size:           8
        .value_kind:     by_value
      - .offset:         72
        .size:           8
        .value_kind:     by_value
      - .offset:         80
        .size:           8
        .value_kind:     by_value
      - .address_space:  global
        .offset:         88
        .size:           8
        .value_kind:     global_buffer
      - .offset:         96
        .size:           8
        .value_kind:     by_value
      - .offset:         104
        .size:           8
        .value_kind:     by_value
      - .offset:         112
        .size:           8
        .value_kind:     by_value
      - .offset:         120
        .size:           4
        .value_kind:     by_value
      - .offset:         128
        .size:           4
        .value_kind:     hidden_block_count_x
      - .offset:         132
        .size:           4
        .value_kind:     hidden_block_count_y
      - .offset:         136
        .size:           4
        .value_kind:     hidden_block_count_z
      - .offset:         140
        .size:           2
        .value_kind:     hidden_group_size_x
      - .offset:         142
        .size:           2
        .value_kind:     hidden_group_size_y
      - .offset:         144
        .size:           2
        .value_kind:     hidden_group_size_z
      - .offset:         146
        .size:           2
        .value_kind:     hidden_remainder_x
      - .offset:         148
        .size:           2
        .value_kind:     hidden_remainder_y
      - .offset:         150
        .size:           2
        .value_kind:     hidden_remainder_z
      - .offset:         168
        .size:           8
        .value_kind:     hidden_global_offset_x
      - .offset:         176
        .size:           8
        .value_kind:     hidden_global_offset_y
      - .offset:         184
        .size:           8
        .value_kind:     hidden_global_offset_z
      - .offset:         192
        .size:           2
        .value_kind:     hidden_grid_dims
    .group_segment_fixed_size: 8192
    .kernarg_segment_align: 8
    .kernarg_segment_size: 384
    .language:       OpenCL C
    .language_version:
      - 2
      - 0
    .max_flat_workgroup_size: 1024
    .name:           _ZL24rocblas_symm_hemm_kernelILb0ELb0ELi32EPKfPKS1_PKPfEvbiiT2_T3_lllS8_lllT4_llli
    .private_segment_fixed_size: 0
    .sgpr_count:     44
    .sgpr_spill_count: 0
    .symbol:         _ZL24rocblas_symm_hemm_kernelILb0ELb0ELi32EPKfPKS1_PKPfEvbiiT2_T3_lllS8_lllT4_llli.kd
    .uniform_work_group_size: 1
    .uses_dynamic_stack: false
    .vgpr_count:     33
    .vgpr_spill_count: 0
    .wavefront_size: 32
  - .args:
      - .offset:         0
        .size:           1
        .value_kind:     by_value
      - .offset:         4
        .size:           4
        .value_kind:     by_value
      - .offset:         8
        .size:           4
        .value_kind:     by_value
      - .address_space:  global
        .offset:         16
        .size:           8
        .value_kind:     global_buffer
      - .address_space:  global
        .offset:         24
        .size:           8
        .value_kind:     global_buffer
      - .offset:         32
        .size:           8
        .value_kind:     by_value
      - .offset:         40
        .size:           8
        .value_kind:     by_value
      - .offset:         48
        .size:           8
        .value_kind:     by_value
      - .address_space:  global
        .offset:         56
        .size:           8
        .value_kind:     global_buffer
      - .offset:         64
        .size:           8
        .value_kind:     by_value
      - .offset:         72
        .size:           8
        .value_kind:     by_value
      - .offset:         80
        .size:           8
        .value_kind:     by_value
      - .address_space:  global
        .offset:         88
        .size:           8
        .value_kind:     global_buffer
      - .offset:         96
        .size:           8
        .value_kind:     by_value
      - .offset:         104
        .size:           8
        .value_kind:     by_value
      - .offset:         112
        .size:           8
        .value_kind:     by_value
      - .offset:         120
        .size:           4
        .value_kind:     by_value
      - .offset:         128
        .size:           4
        .value_kind:     hidden_block_count_x
      - .offset:         132
        .size:           4
        .value_kind:     hidden_block_count_y
      - .offset:         136
        .size:           4
        .value_kind:     hidden_block_count_z
      - .offset:         140
        .size:           2
        .value_kind:     hidden_group_size_x
      - .offset:         142
        .size:           2
        .value_kind:     hidden_group_size_y
      - .offset:         144
        .size:           2
        .value_kind:     hidden_group_size_z
      - .offset:         146
        .size:           2
        .value_kind:     hidden_remainder_x
      - .offset:         148
        .size:           2
        .value_kind:     hidden_remainder_y
      - .offset:         150
        .size:           2
        .value_kind:     hidden_remainder_z
      - .offset:         168
        .size:           8
        .value_kind:     hidden_global_offset_x
      - .offset:         176
        .size:           8
        .value_kind:     hidden_global_offset_y
      - .offset:         184
        .size:           8
        .value_kind:     hidden_global_offset_z
      - .offset:         192
        .size:           2
        .value_kind:     hidden_grid_dims
    .group_segment_fixed_size: 8192
    .kernarg_segment_align: 8
    .kernarg_segment_size: 384
    .language:       OpenCL C
    .language_version:
      - 2
      - 0
    .max_flat_workgroup_size: 1024
    .name:           _ZL24rocblas_symm_hemm_kernelILb0ELb1ELi32EPKfPKS1_PKPfEvbiiT2_T3_lllS8_lllT4_llli
    .private_segment_fixed_size: 0
    .sgpr_count:     41
    .sgpr_spill_count: 0
    .symbol:         _ZL24rocblas_symm_hemm_kernelILb0ELb1ELi32EPKfPKS1_PKPfEvbiiT2_T3_lllS8_lllT4_llli.kd
    .uniform_work_group_size: 1
    .uses_dynamic_stack: false
    .vgpr_count:     34
    .vgpr_spill_count: 0
    .wavefront_size: 32
  - .args:
      - .offset:         0
        .size:           4
        .value_kind:     by_value
      - .offset:         4
        .size:           4
        .value_kind:     by_value
      - .offset:         8
        .size:           4
        .value_kind:     by_value
      - .address_space:  global
        .offset:         16
        .size:           8
        .value_kind:     global_buffer
      - .offset:         24
        .size:           8
        .value_kind:     by_value
      - .offset:         32
        .size:           8
        .value_kind:     by_value
      - .offset:         40
        .size:           8
        .value_kind:     by_value
      - .offset:         48
        .size:           4
        .value_kind:     by_value
      - .offset:         56
        .size:           4
        .value_kind:     hidden_block_count_x
      - .offset:         60
        .size:           4
        .value_kind:     hidden_block_count_y
      - .offset:         64
        .size:           4
        .value_kind:     hidden_block_count_z
      - .offset:         68
        .size:           2
        .value_kind:     hidden_group_size_x
      - .offset:         70
        .size:           2
        .value_kind:     hidden_group_size_y
      - .offset:         72
        .size:           2
        .value_kind:     hidden_group_size_z
      - .offset:         74
        .size:           2
        .value_kind:     hidden_remainder_x
      - .offset:         76
        .size:           2
        .value_kind:     hidden_remainder_y
      - .offset:         78
        .size:           2
        .value_kind:     hidden_remainder_z
      - .offset:         96
        .size:           8
        .value_kind:     hidden_global_offset_x
      - .offset:         104
        .size:           8
        .value_kind:     hidden_global_offset_y
      - .offset:         112
        .size:           8
        .value_kind:     hidden_global_offset_z
      - .offset:         120
        .size:           2
        .value_kind:     hidden_grid_dims
    .group_segment_fixed_size: 0
    .kernarg_segment_align: 8
    .kernarg_segment_size: 312
    .language:       OpenCL C
    .language_version:
      - 2
      - 0
    .max_flat_workgroup_size: 1024
    .name:           _ZL25rocblas_symm_scale_kernelILi128ELi8EfPKPfEviiT1_T2_llli
    .private_segment_fixed_size: 0
    .sgpr_count:     22
    .sgpr_spill_count: 0
    .symbol:         _ZL25rocblas_symm_scale_kernelILi128ELi8EfPKPfEviiT1_T2_llli.kd
    .uniform_work_group_size: 1
    .uses_dynamic_stack: false
    .vgpr_count:     9
    .vgpr_spill_count: 0
    .wavefront_size: 32
  - .args:
      - .offset:         0
        .size:           1
        .value_kind:     by_value
      - .offset:         4
        .size:           4
        .value_kind:     by_value
      - .offset:         8
        .size:           4
        .value_kind:     by_value
      - .offset:         12
        .size:           4
        .value_kind:     by_value
      - .address_space:  global
        .offset:         16
        .size:           8
        .value_kind:     global_buffer
      - .offset:         24
        .size:           8
        .value_kind:     by_value
      - .offset:         32
        .size:           8
        .value_kind:     by_value
      - .offset:         40
        .size:           8
        .value_kind:     by_value
      - .address_space:  global
        .offset:         48
        .size:           8
        .value_kind:     global_buffer
      - .offset:         56
        .size:           8
        .value_kind:     by_value
      - .offset:         64
        .size:           8
        .value_kind:     by_value
      - .offset:         72
        .size:           8
        .value_kind:     by_value
      - .address_space:  global
        .offset:         80
        .size:           8
        .value_kind:     global_buffer
      - .offset:         88
        .size:           8
        .value_kind:     by_value
      - .offset:         96
        .size:           8
        .value_kind:     by_value
      - .offset:         104
        .size:           8
        .value_kind:     by_value
      - .offset:         112
        .size:           4
        .value_kind:     by_value
      - .offset:         120
        .size:           4
        .value_kind:     hidden_block_count_x
      - .offset:         124
        .size:           4
        .value_kind:     hidden_block_count_y
      - .offset:         128
        .size:           4
        .value_kind:     hidden_block_count_z
      - .offset:         132
        .size:           2
        .value_kind:     hidden_group_size_x
      - .offset:         134
        .size:           2
        .value_kind:     hidden_group_size_y
      - .offset:         136
        .size:           2
        .value_kind:     hidden_group_size_z
      - .offset:         138
        .size:           2
        .value_kind:     hidden_remainder_x
      - .offset:         140
        .size:           2
        .value_kind:     hidden_remainder_y
      - .offset:         142
        .size:           2
        .value_kind:     hidden_remainder_z
      - .offset:         160
        .size:           8
        .value_kind:     hidden_global_offset_x
      - .offset:         168
        .size:           8
        .value_kind:     hidden_global_offset_y
      - .offset:         176
        .size:           8
        .value_kind:     hidden_global_offset_z
      - .offset:         184
        .size:           2
        .value_kind:     hidden_grid_dims
    .group_segment_fixed_size: 8192
    .kernarg_segment_align: 8
    .kernarg_segment_size: 376
    .language:       OpenCL C
    .language_version:
      - 2
      - 0
    .max_flat_workgroup_size: 1024
    .name:           _ZL24rocblas_symm_hemm_kernelILb0ELb0ELi32EfPKPKfPKPfEvbiiT2_T3_lllS8_lllT4_llli
    .private_segment_fixed_size: 0
    .sgpr_count:     44
    .sgpr_spill_count: 0
    .symbol:         _ZL24rocblas_symm_hemm_kernelILb0ELb0ELi32EfPKPKfPKPfEvbiiT2_T3_lllS8_lllT4_llli.kd
    .uniform_work_group_size: 1
    .uses_dynamic_stack: false
    .vgpr_count:     33
    .vgpr_spill_count: 0
    .wavefront_size: 32
  - .args:
      - .offset:         0
        .size:           1
        .value_kind:     by_value
      - .offset:         4
        .size:           4
        .value_kind:     by_value
      - .offset:         8
        .size:           4
        .value_kind:     by_value
      - .offset:         12
        .size:           4
        .value_kind:     by_value
      - .address_space:  global
        .offset:         16
        .size:           8
        .value_kind:     global_buffer
      - .offset:         24
        .size:           8
        .value_kind:     by_value
      - .offset:         32
        .size:           8
        .value_kind:     by_value
      - .offset:         40
        .size:           8
        .value_kind:     by_value
      - .address_space:  global
        .offset:         48
        .size:           8
        .value_kind:     global_buffer
      - .offset:         56
        .size:           8
        .value_kind:     by_value
      - .offset:         64
        .size:           8
        .value_kind:     by_value
      - .offset:         72
        .size:           8
        .value_kind:     by_value
      - .address_space:  global
        .offset:         80
        .size:           8
        .value_kind:     global_buffer
      - .offset:         88
        .size:           8
        .value_kind:     by_value
      - .offset:         96
        .size:           8
        .value_kind:     by_value
      - .offset:         104
        .size:           8
        .value_kind:     by_value
      - .offset:         112
        .size:           4
        .value_kind:     by_value
      - .offset:         120
        .size:           4
        .value_kind:     hidden_block_count_x
      - .offset:         124
        .size:           4
        .value_kind:     hidden_block_count_y
      - .offset:         128
        .size:           4
        .value_kind:     hidden_block_count_z
      - .offset:         132
        .size:           2
        .value_kind:     hidden_group_size_x
      - .offset:         134
        .size:           2
        .value_kind:     hidden_group_size_y
      - .offset:         136
        .size:           2
        .value_kind:     hidden_group_size_z
      - .offset:         138
        .size:           2
        .value_kind:     hidden_remainder_x
      - .offset:         140
        .size:           2
        .value_kind:     hidden_remainder_y
      - .offset:         142
        .size:           2
        .value_kind:     hidden_remainder_z
      - .offset:         160
        .size:           8
        .value_kind:     hidden_global_offset_x
      - .offset:         168
        .size:           8
        .value_kind:     hidden_global_offset_y
      - .offset:         176
        .size:           8
        .value_kind:     hidden_global_offset_z
      - .offset:         184
        .size:           2
        .value_kind:     hidden_grid_dims
    .group_segment_fixed_size: 8192
    .kernarg_segment_align: 8
    .kernarg_segment_size: 376
    .language:       OpenCL C
    .language_version:
      - 2
      - 0
    .max_flat_workgroup_size: 1024
    .name:           _ZL24rocblas_symm_hemm_kernelILb0ELb1ELi32EfPKPKfPKPfEvbiiT2_T3_lllS8_lllT4_llli
    .private_segment_fixed_size: 0
    .sgpr_count:     41
    .sgpr_spill_count: 0
    .symbol:         _ZL24rocblas_symm_hemm_kernelILb0ELb1ELi32EfPKPKfPKPfEvbiiT2_T3_lllS8_lllT4_llli.kd
    .uniform_work_group_size: 1
    .uses_dynamic_stack: false
    .vgpr_count:     34
    .vgpr_spill_count: 0
    .wavefront_size: 32
  - .args:
      - .offset:         0
        .size:           4
        .value_kind:     by_value
      - .offset:         4
        .size:           4
        .value_kind:     by_value
      - .address_space:  global
        .offset:         8
        .size:           8
        .value_kind:     global_buffer
      - .address_space:  global
        .offset:         16
        .size:           8
        .value_kind:     global_buffer
      - .offset:         24
        .size:           8
        .value_kind:     by_value
      - .offset:         32
        .size:           8
        .value_kind:     by_value
      - .offset:         40
        .size:           8
        .value_kind:     by_value
      - .offset:         48
        .size:           4
        .value_kind:     by_value
      - .offset:         56
        .size:           4
        .value_kind:     hidden_block_count_x
      - .offset:         60
        .size:           4
        .value_kind:     hidden_block_count_y
      - .offset:         64
        .size:           4
        .value_kind:     hidden_block_count_z
      - .offset:         68
        .size:           2
        .value_kind:     hidden_group_size_x
      - .offset:         70
        .size:           2
        .value_kind:     hidden_group_size_y
      - .offset:         72
        .size:           2
        .value_kind:     hidden_group_size_z
      - .offset:         74
        .size:           2
        .value_kind:     hidden_remainder_x
      - .offset:         76
        .size:           2
        .value_kind:     hidden_remainder_y
      - .offset:         78
        .size:           2
        .value_kind:     hidden_remainder_z
      - .offset:         96
        .size:           8
        .value_kind:     hidden_global_offset_x
      - .offset:         104
        .size:           8
        .value_kind:     hidden_global_offset_y
      - .offset:         112
        .size:           8
        .value_kind:     hidden_global_offset_z
      - .offset:         120
        .size:           2
        .value_kind:     hidden_grid_dims
    .group_segment_fixed_size: 0
    .kernarg_segment_align: 8
    .kernarg_segment_size: 312
    .language:       OpenCL C
    .language_version:
      - 2
      - 0
    .max_flat_workgroup_size: 1024
    .name:           _ZL25rocblas_symm_scale_kernelILi128ELi8EPKdPKPdEviiT1_T2_llli
    .private_segment_fixed_size: 0
    .sgpr_count:     22
    .sgpr_spill_count: 0
    .symbol:         _ZL25rocblas_symm_scale_kernelILi128ELi8EPKdPKPdEviiT1_T2_llli.kd
    .uniform_work_group_size: 1
    .uses_dynamic_stack: false
    .vgpr_count:     10
    .vgpr_spill_count: 0
    .wavefront_size: 32
  - .args:
      - .offset:         0
        .size:           1
        .value_kind:     by_value
      - .offset:         4
        .size:           4
        .value_kind:     by_value
      - .offset:         8
        .size:           4
        .value_kind:     by_value
      - .address_space:  global
        .offset:         16
        .size:           8
        .value_kind:     global_buffer
      - .address_space:  global
        .offset:         24
        .size:           8
        .value_kind:     global_buffer
      - .offset:         32
        .size:           8
        .value_kind:     by_value
      - .offset:         40
        .size:           8
        .value_kind:     by_value
      - .offset:         48
        .size:           8
        .value_kind:     by_value
      - .address_space:  global
        .offset:         56
        .size:           8
        .value_kind:     global_buffer
      - .offset:         64
        .size:           8
        .value_kind:     by_value
      - .offset:         72
        .size:           8
        .value_kind:     by_value
      - .offset:         80
        .size:           8
        .value_kind:     by_value
      - .address_space:  global
        .offset:         88
        .size:           8
        .value_kind:     global_buffer
      - .offset:         96
        .size:           8
        .value_kind:     by_value
      - .offset:         104
        .size:           8
        .value_kind:     by_value
      - .offset:         112
        .size:           8
        .value_kind:     by_value
      - .offset:         120
        .size:           4
        .value_kind:     by_value
      - .offset:         128
        .size:           4
        .value_kind:     hidden_block_count_x
      - .offset:         132
        .size:           4
        .value_kind:     hidden_block_count_y
      - .offset:         136
        .size:           4
        .value_kind:     hidden_block_count_z
      - .offset:         140
        .size:           2
        .value_kind:     hidden_group_size_x
      - .offset:         142
        .size:           2
        .value_kind:     hidden_group_size_y
      - .offset:         144
        .size:           2
        .value_kind:     hidden_group_size_z
      - .offset:         146
        .size:           2
        .value_kind:     hidden_remainder_x
      - .offset:         148
        .size:           2
        .value_kind:     hidden_remainder_y
      - .offset:         150
        .size:           2
        .value_kind:     hidden_remainder_z
      - .offset:         168
        .size:           8
        .value_kind:     hidden_global_offset_x
      - .offset:         176
        .size:           8
        .value_kind:     hidden_global_offset_y
      - .offset:         184
        .size:           8
        .value_kind:     hidden_global_offset_z
      - .offset:         192
        .size:           2
        .value_kind:     hidden_grid_dims
    .group_segment_fixed_size: 16384
    .kernarg_segment_align: 8
    .kernarg_segment_size: 384
    .language:       OpenCL C
    .language_version:
      - 2
      - 0
    .max_flat_workgroup_size: 1024
    .name:           _ZL24rocblas_symm_hemm_kernelILb0ELb0ELi32EPKdPKS1_PKPdEvbiiT2_T3_lllS8_lllT4_llli
    .private_segment_fixed_size: 0
    .sgpr_count:     45
    .sgpr_spill_count: 0
    .symbol:         _ZL24rocblas_symm_hemm_kernelILb0ELb0ELi32EPKdPKS1_PKPdEvbiiT2_T3_lllS8_lllT4_llli.kd
    .uniform_work_group_size: 1
    .uses_dynamic_stack: false
    .vgpr_count:     34
    .vgpr_spill_count: 0
    .wavefront_size: 32
  - .args:
      - .offset:         0
        .size:           1
        .value_kind:     by_value
      - .offset:         4
        .size:           4
        .value_kind:     by_value
      - .offset:         8
        .size:           4
        .value_kind:     by_value
      - .address_space:  global
        .offset:         16
        .size:           8
        .value_kind:     global_buffer
      - .address_space:  global
        .offset:         24
        .size:           8
        .value_kind:     global_buffer
      - .offset:         32
        .size:           8
        .value_kind:     by_value
      - .offset:         40
        .size:           8
        .value_kind:     by_value
      - .offset:         48
        .size:           8
        .value_kind:     by_value
      - .address_space:  global
        .offset:         56
        .size:           8
        .value_kind:     global_buffer
      - .offset:         64
        .size:           8
        .value_kind:     by_value
      - .offset:         72
        .size:           8
        .value_kind:     by_value
      - .offset:         80
        .size:           8
        .value_kind:     by_value
      - .address_space:  global
        .offset:         88
        .size:           8
        .value_kind:     global_buffer
      - .offset:         96
        .size:           8
        .value_kind:     by_value
      - .offset:         104
        .size:           8
        .value_kind:     by_value
      - .offset:         112
        .size:           8
        .value_kind:     by_value
      - .offset:         120
        .size:           4
        .value_kind:     by_value
      - .offset:         128
        .size:           4
        .value_kind:     hidden_block_count_x
      - .offset:         132
        .size:           4
        .value_kind:     hidden_block_count_y
      - .offset:         136
        .size:           4
        .value_kind:     hidden_block_count_z
      - .offset:         140
        .size:           2
        .value_kind:     hidden_group_size_x
      - .offset:         142
        .size:           2
        .value_kind:     hidden_group_size_y
      - .offset:         144
        .size:           2
        .value_kind:     hidden_group_size_z
      - .offset:         146
        .size:           2
        .value_kind:     hidden_remainder_x
      - .offset:         148
        .size:           2
        .value_kind:     hidden_remainder_y
      - .offset:         150
        .size:           2
        .value_kind:     hidden_remainder_z
      - .offset:         168
        .size:           8
        .value_kind:     hidden_global_offset_x
      - .offset:         176
        .size:           8
        .value_kind:     hidden_global_offset_y
      - .offset:         184
        .size:           8
        .value_kind:     hidden_global_offset_z
      - .offset:         192
        .size:           2
        .value_kind:     hidden_grid_dims
    .group_segment_fixed_size: 16384
    .kernarg_segment_align: 8
    .kernarg_segment_size: 384
    .language:       OpenCL C
    .language_version:
      - 2
      - 0
    .max_flat_workgroup_size: 1024
    .name:           _ZL24rocblas_symm_hemm_kernelILb0ELb1ELi32EPKdPKS1_PKPdEvbiiT2_T3_lllS8_lllT4_llli
    .private_segment_fixed_size: 0
    .sgpr_count:     42
    .sgpr_spill_count: 0
    .symbol:         _ZL24rocblas_symm_hemm_kernelILb0ELb1ELi32EPKdPKS1_PKPdEvbiiT2_T3_lllS8_lllT4_llli.kd
    .uniform_work_group_size: 1
    .uses_dynamic_stack: false
    .vgpr_count:     36
    .vgpr_spill_count: 0
    .wavefront_size: 32
  - .args:
      - .offset:         0
        .size:           4
        .value_kind:     by_value
      - .offset:         4
        .size:           4
        .value_kind:     by_value
      - .offset:         8
        .size:           8
        .value_kind:     by_value
      - .address_space:  global
        .offset:         16
        .size:           8
        .value_kind:     global_buffer
      - .offset:         24
        .size:           8
        .value_kind:     by_value
      - .offset:         32
        .size:           8
        .value_kind:     by_value
      - .offset:         40
        .size:           8
        .value_kind:     by_value
      - .offset:         48
        .size:           4
        .value_kind:     by_value
      - .offset:         56
        .size:           4
        .value_kind:     hidden_block_count_x
      - .offset:         60
        .size:           4
        .value_kind:     hidden_block_count_y
      - .offset:         64
        .size:           4
        .value_kind:     hidden_block_count_z
      - .offset:         68
        .size:           2
        .value_kind:     hidden_group_size_x
      - .offset:         70
        .size:           2
        .value_kind:     hidden_group_size_y
      - .offset:         72
        .size:           2
        .value_kind:     hidden_group_size_z
      - .offset:         74
        .size:           2
        .value_kind:     hidden_remainder_x
      - .offset:         76
        .size:           2
        .value_kind:     hidden_remainder_y
      - .offset:         78
        .size:           2
        .value_kind:     hidden_remainder_z
      - .offset:         96
        .size:           8
        .value_kind:     hidden_global_offset_x
      - .offset:         104
        .size:           8
        .value_kind:     hidden_global_offset_y
      - .offset:         112
        .size:           8
        .value_kind:     hidden_global_offset_z
      - .offset:         120
        .size:           2
        .value_kind:     hidden_grid_dims
    .group_segment_fixed_size: 0
    .kernarg_segment_align: 8
    .kernarg_segment_size: 312
    .language:       OpenCL C
    .language_version:
      - 2
      - 0
    .max_flat_workgroup_size: 1024
    .name:           _ZL25rocblas_symm_scale_kernelILi128ELi8EdPKPdEviiT1_T2_llli
    .private_segment_fixed_size: 0
    .sgpr_count:     22
    .sgpr_spill_count: 0
    .symbol:         _ZL25rocblas_symm_scale_kernelILi128ELi8EdPKPdEviiT1_T2_llli.kd
    .uniform_work_group_size: 1
    .uses_dynamic_stack: false
    .vgpr_count:     10
    .vgpr_spill_count: 0
    .wavefront_size: 32
  - .args:
      - .offset:         0
        .size:           1
        .value_kind:     by_value
      - .offset:         4
        .size:           4
        .value_kind:     by_value
      - .offset:         8
        .size:           4
        .value_kind:     by_value
      - .offset:         16
        .size:           8
        .value_kind:     by_value
      - .address_space:  global
        .offset:         24
        .size:           8
        .value_kind:     global_buffer
      - .offset:         32
        .size:           8
        .value_kind:     by_value
      - .offset:         40
        .size:           8
        .value_kind:     by_value
      - .offset:         48
        .size:           8
        .value_kind:     by_value
      - .address_space:  global
        .offset:         56
        .size:           8
        .value_kind:     global_buffer
      - .offset:         64
        .size:           8
        .value_kind:     by_value
      - .offset:         72
        .size:           8
        .value_kind:     by_value
      - .offset:         80
        .size:           8
        .value_kind:     by_value
      - .address_space:  global
        .offset:         88
        .size:           8
        .value_kind:     global_buffer
      - .offset:         96
        .size:           8
        .value_kind:     by_value
      - .offset:         104
        .size:           8
        .value_kind:     by_value
      - .offset:         112
        .size:           8
        .value_kind:     by_value
      - .offset:         120
        .size:           4
        .value_kind:     by_value
      - .offset:         128
        .size:           4
        .value_kind:     hidden_block_count_x
      - .offset:         132
        .size:           4
        .value_kind:     hidden_block_count_y
      - .offset:         136
        .size:           4
        .value_kind:     hidden_block_count_z
      - .offset:         140
        .size:           2
        .value_kind:     hidden_group_size_x
      - .offset:         142
        .size:           2
        .value_kind:     hidden_group_size_y
      - .offset:         144
        .size:           2
        .value_kind:     hidden_group_size_z
      - .offset:         146
        .size:           2
        .value_kind:     hidden_remainder_x
      - .offset:         148
        .size:           2
        .value_kind:     hidden_remainder_y
      - .offset:         150
        .size:           2
        .value_kind:     hidden_remainder_z
      - .offset:         168
        .size:           8
        .value_kind:     hidden_global_offset_x
      - .offset:         176
        .size:           8
        .value_kind:     hidden_global_offset_y
      - .offset:         184
        .size:           8
        .value_kind:     hidden_global_offset_z
      - .offset:         192
        .size:           2
        .value_kind:     hidden_grid_dims
    .group_segment_fixed_size: 16384
    .kernarg_segment_align: 8
    .kernarg_segment_size: 384
    .language:       OpenCL C
    .language_version:
      - 2
      - 0
    .max_flat_workgroup_size: 1024
    .name:           _ZL24rocblas_symm_hemm_kernelILb0ELb0ELi32EdPKPKdPKPdEvbiiT2_T3_lllS8_lllT4_llli
    .private_segment_fixed_size: 0
    .sgpr_count:     45
    .sgpr_spill_count: 0
    .symbol:         _ZL24rocblas_symm_hemm_kernelILb0ELb0ELi32EdPKPKdPKPdEvbiiT2_T3_lllS8_lllT4_llli.kd
    .uniform_work_group_size: 1
    .uses_dynamic_stack: false
    .vgpr_count:     34
    .vgpr_spill_count: 0
    .wavefront_size: 32
  - .args:
      - .offset:         0
        .size:           1
        .value_kind:     by_value
      - .offset:         4
        .size:           4
        .value_kind:     by_value
      - .offset:         8
        .size:           4
        .value_kind:     by_value
      - .offset:         16
        .size:           8
        .value_kind:     by_value
      - .address_space:  global
        .offset:         24
        .size:           8
        .value_kind:     global_buffer
      - .offset:         32
        .size:           8
        .value_kind:     by_value
      - .offset:         40
        .size:           8
        .value_kind:     by_value
      - .offset:         48
        .size:           8
        .value_kind:     by_value
      - .address_space:  global
        .offset:         56
        .size:           8
        .value_kind:     global_buffer
      - .offset:         64
        .size:           8
        .value_kind:     by_value
      - .offset:         72
        .size:           8
        .value_kind:     by_value
      - .offset:         80
        .size:           8
        .value_kind:     by_value
      - .address_space:  global
        .offset:         88
        .size:           8
        .value_kind:     global_buffer
      - .offset:         96
        .size:           8
        .value_kind:     by_value
      - .offset:         104
        .size:           8
        .value_kind:     by_value
      - .offset:         112
        .size:           8
        .value_kind:     by_value
      - .offset:         120
        .size:           4
        .value_kind:     by_value
      - .offset:         128
        .size:           4
        .value_kind:     hidden_block_count_x
      - .offset:         132
        .size:           4
        .value_kind:     hidden_block_count_y
      - .offset:         136
        .size:           4
        .value_kind:     hidden_block_count_z
      - .offset:         140
        .size:           2
        .value_kind:     hidden_group_size_x
      - .offset:         142
        .size:           2
        .value_kind:     hidden_group_size_y
      - .offset:         144
        .size:           2
        .value_kind:     hidden_group_size_z
      - .offset:         146
        .size:           2
        .value_kind:     hidden_remainder_x
      - .offset:         148
        .size:           2
        .value_kind:     hidden_remainder_y
      - .offset:         150
        .size:           2
        .value_kind:     hidden_remainder_z
      - .offset:         168
        .size:           8
        .value_kind:     hidden_global_offset_x
      - .offset:         176
        .size:           8
        .value_kind:     hidden_global_offset_y
      - .offset:         184
        .size:           8
        .value_kind:     hidden_global_offset_z
      - .offset:         192
        .size:           2
        .value_kind:     hidden_grid_dims
    .group_segment_fixed_size: 16384
    .kernarg_segment_align: 8
    .kernarg_segment_size: 384
    .language:       OpenCL C
    .language_version:
      - 2
      - 0
    .max_flat_workgroup_size: 1024
    .name:           _ZL24rocblas_symm_hemm_kernelILb0ELb1ELi32EdPKPKdPKPdEvbiiT2_T3_lllS8_lllT4_llli
    .private_segment_fixed_size: 0
    .sgpr_count:     42
    .sgpr_spill_count: 0
    .symbol:         _ZL24rocblas_symm_hemm_kernelILb0ELb1ELi32EdPKPKdPKPdEvbiiT2_T3_lllS8_lllT4_llli.kd
    .uniform_work_group_size: 1
    .uses_dynamic_stack: false
    .vgpr_count:     36
    .vgpr_spill_count: 0
    .wavefront_size: 32
  - .args:
      - .offset:         0
        .size:           4
        .value_kind:     by_value
      - .offset:         4
        .size:           4
        .value_kind:     by_value
      - .address_space:  global
        .offset:         8
        .size:           8
        .value_kind:     global_buffer
      - .address_space:  global
        .offset:         16
        .size:           8
        .value_kind:     global_buffer
      - .offset:         24
        .size:           8
        .value_kind:     by_value
      - .offset:         32
        .size:           8
        .value_kind:     by_value
      - .offset:         40
        .size:           8
        .value_kind:     by_value
      - .offset:         48
        .size:           4
        .value_kind:     by_value
      - .offset:         56
        .size:           4
        .value_kind:     hidden_block_count_x
      - .offset:         60
        .size:           4
        .value_kind:     hidden_block_count_y
      - .offset:         64
        .size:           4
        .value_kind:     hidden_block_count_z
      - .offset:         68
        .size:           2
        .value_kind:     hidden_group_size_x
      - .offset:         70
        .size:           2
        .value_kind:     hidden_group_size_y
      - .offset:         72
        .size:           2
        .value_kind:     hidden_group_size_z
      - .offset:         74
        .size:           2
        .value_kind:     hidden_remainder_x
      - .offset:         76
        .size:           2
        .value_kind:     hidden_remainder_y
      - .offset:         78
        .size:           2
        .value_kind:     hidden_remainder_z
      - .offset:         96
        .size:           8
        .value_kind:     hidden_global_offset_x
      - .offset:         104
        .size:           8
        .value_kind:     hidden_global_offset_y
      - .offset:         112
        .size:           8
        .value_kind:     hidden_global_offset_z
      - .offset:         120
        .size:           2
        .value_kind:     hidden_grid_dims
    .group_segment_fixed_size: 0
    .kernarg_segment_align: 8
    .kernarg_segment_size: 312
    .language:       OpenCL C
    .language_version:
      - 2
      - 0
    .max_flat_workgroup_size: 1024
    .name:           _ZL25rocblas_symm_scale_kernelILi128ELi8EPK19rocblas_complex_numIfEPKPS1_EviiT1_T2_llli
    .private_segment_fixed_size: 0
    .sgpr_count:     24
    .sgpr_spill_count: 0
    .symbol:         _ZL25rocblas_symm_scale_kernelILi128ELi8EPK19rocblas_complex_numIfEPKPS1_EviiT1_T2_llli.kd
    .uniform_work_group_size: 1
    .uses_dynamic_stack: false
    .vgpr_count:     16
    .vgpr_spill_count: 0
    .wavefront_size: 32
  - .args:
      - .offset:         0
        .size:           1
        .value_kind:     by_value
      - .offset:         4
        .size:           4
        .value_kind:     by_value
      - .offset:         8
        .size:           4
        .value_kind:     by_value
      - .address_space:  global
        .offset:         16
        .size:           8
        .value_kind:     global_buffer
      - .address_space:  global
        .offset:         24
        .size:           8
        .value_kind:     global_buffer
      - .offset:         32
        .size:           8
        .value_kind:     by_value
      - .offset:         40
        .size:           8
        .value_kind:     by_value
      - .offset:         48
        .size:           8
        .value_kind:     by_value
      - .address_space:  global
        .offset:         56
        .size:           8
        .value_kind:     global_buffer
      - .offset:         64
        .size:           8
        .value_kind:     by_value
      - .offset:         72
        .size:           8
        .value_kind:     by_value
      - .offset:         80
        .size:           8
        .value_kind:     by_value
      - .address_space:  global
        .offset:         88
        .size:           8
        .value_kind:     global_buffer
      - .offset:         96
        .size:           8
        .value_kind:     by_value
      - .offset:         104
        .size:           8
        .value_kind:     by_value
      - .offset:         112
        .size:           8
        .value_kind:     by_value
      - .offset:         120
        .size:           4
        .value_kind:     by_value
      - .offset:         128
        .size:           4
        .value_kind:     hidden_block_count_x
      - .offset:         132
        .size:           4
        .value_kind:     hidden_block_count_y
      - .offset:         136
        .size:           4
        .value_kind:     hidden_block_count_z
      - .offset:         140
        .size:           2
        .value_kind:     hidden_group_size_x
      - .offset:         142
        .size:           2
        .value_kind:     hidden_group_size_y
      - .offset:         144
        .size:           2
        .value_kind:     hidden_group_size_z
      - .offset:         146
        .size:           2
        .value_kind:     hidden_remainder_x
      - .offset:         148
        .size:           2
        .value_kind:     hidden_remainder_y
      - .offset:         150
        .size:           2
        .value_kind:     hidden_remainder_z
      - .offset:         168
        .size:           8
        .value_kind:     hidden_global_offset_x
      - .offset:         176
        .size:           8
        .value_kind:     hidden_global_offset_y
      - .offset:         184
        .size:           8
        .value_kind:     hidden_global_offset_z
      - .offset:         192
        .size:           2
        .value_kind:     hidden_grid_dims
    .group_segment_fixed_size: 16384
    .kernarg_segment_align: 8
    .kernarg_segment_size: 384
    .language:       OpenCL C
    .language_version:
      - 2
      - 0
    .max_flat_workgroup_size: 1024
    .name:           _ZL24rocblas_symm_hemm_kernelILb0ELb0ELi32EPK19rocblas_complex_numIfEPKS3_PKPS1_EvbiiT2_T3_lllSA_lllT4_llli
    .private_segment_fixed_size: 0
    .sgpr_count:     43
    .sgpr_spill_count: 0
    .symbol:         _ZL24rocblas_symm_hemm_kernelILb0ELb0ELi32EPK19rocblas_complex_numIfEPKS3_PKPS1_EvbiiT2_T3_lllSA_lllT4_llli.kd
    .uniform_work_group_size: 1
    .uses_dynamic_stack: false
    .vgpr_count:     50
    .vgpr_spill_count: 0
    .wavefront_size: 32
  - .args:
      - .offset:         0
        .size:           1
        .value_kind:     by_value
      - .offset:         4
        .size:           4
        .value_kind:     by_value
      - .offset:         8
        .size:           4
        .value_kind:     by_value
      - .address_space:  global
        .offset:         16
        .size:           8
        .value_kind:     global_buffer
      - .address_space:  global
        .offset:         24
        .size:           8
        .value_kind:     global_buffer
      - .offset:         32
        .size:           8
        .value_kind:     by_value
      - .offset:         40
        .size:           8
        .value_kind:     by_value
      - .offset:         48
        .size:           8
        .value_kind:     by_value
      - .address_space:  global
        .offset:         56
        .size:           8
        .value_kind:     global_buffer
      - .offset:         64
        .size:           8
        .value_kind:     by_value
      - .offset:         72
        .size:           8
        .value_kind:     by_value
      - .offset:         80
        .size:           8
        .value_kind:     by_value
      - .address_space:  global
        .offset:         88
        .size:           8
        .value_kind:     global_buffer
      - .offset:         96
        .size:           8
        .value_kind:     by_value
      - .offset:         104
        .size:           8
        .value_kind:     by_value
      - .offset:         112
        .size:           8
        .value_kind:     by_value
      - .offset:         120
        .size:           4
        .value_kind:     by_value
      - .offset:         128
        .size:           4
        .value_kind:     hidden_block_count_x
      - .offset:         132
        .size:           4
        .value_kind:     hidden_block_count_y
      - .offset:         136
        .size:           4
        .value_kind:     hidden_block_count_z
      - .offset:         140
        .size:           2
        .value_kind:     hidden_group_size_x
      - .offset:         142
        .size:           2
        .value_kind:     hidden_group_size_y
      - .offset:         144
        .size:           2
        .value_kind:     hidden_group_size_z
      - .offset:         146
        .size:           2
        .value_kind:     hidden_remainder_x
      - .offset:         148
        .size:           2
        .value_kind:     hidden_remainder_y
      - .offset:         150
        .size:           2
        .value_kind:     hidden_remainder_z
      - .offset:         168
        .size:           8
        .value_kind:     hidden_global_offset_x
      - .offset:         176
        .size:           8
        .value_kind:     hidden_global_offset_y
      - .offset:         184
        .size:           8
        .value_kind:     hidden_global_offset_z
      - .offset:         192
        .size:           2
        .value_kind:     hidden_grid_dims
    .group_segment_fixed_size: 16384
    .kernarg_segment_align: 8
    .kernarg_segment_size: 384
    .language:       OpenCL C
    .language_version:
      - 2
      - 0
    .max_flat_workgroup_size: 1024
    .name:           _ZL24rocblas_symm_hemm_kernelILb0ELb1ELi32EPK19rocblas_complex_numIfEPKS3_PKPS1_EvbiiT2_T3_lllSA_lllT4_llli
    .private_segment_fixed_size: 0
    .sgpr_count:     42
    .sgpr_spill_count: 0
    .symbol:         _ZL24rocblas_symm_hemm_kernelILb0ELb1ELi32EPK19rocblas_complex_numIfEPKS3_PKPS1_EvbiiT2_T3_lllSA_lllT4_llli.kd
    .uniform_work_group_size: 1
    .uses_dynamic_stack: false
    .vgpr_count:     50
    .vgpr_spill_count: 0
    .wavefront_size: 32
  - .args:
      - .offset:         0
        .size:           4
        .value_kind:     by_value
      - .offset:         4
        .size:           4
        .value_kind:     by_value
      - .offset:         8
        .size:           8
        .value_kind:     by_value
      - .address_space:  global
        .offset:         16
        .size:           8
        .value_kind:     global_buffer
      - .offset:         24
        .size:           8
        .value_kind:     by_value
      - .offset:         32
        .size:           8
        .value_kind:     by_value
      - .offset:         40
        .size:           8
        .value_kind:     by_value
      - .offset:         48
        .size:           4
        .value_kind:     by_value
      - .offset:         56
        .size:           4
        .value_kind:     hidden_block_count_x
      - .offset:         60
        .size:           4
        .value_kind:     hidden_block_count_y
      - .offset:         64
        .size:           4
        .value_kind:     hidden_block_count_z
      - .offset:         68
        .size:           2
        .value_kind:     hidden_group_size_x
      - .offset:         70
        .size:           2
        .value_kind:     hidden_group_size_y
      - .offset:         72
        .size:           2
        .value_kind:     hidden_group_size_z
      - .offset:         74
        .size:           2
        .value_kind:     hidden_remainder_x
      - .offset:         76
        .size:           2
        .value_kind:     hidden_remainder_y
      - .offset:         78
        .size:           2
        .value_kind:     hidden_remainder_z
      - .offset:         96
        .size:           8
        .value_kind:     hidden_global_offset_x
      - .offset:         104
        .size:           8
        .value_kind:     hidden_global_offset_y
      - .offset:         112
        .size:           8
        .value_kind:     hidden_global_offset_z
      - .offset:         120
        .size:           2
        .value_kind:     hidden_grid_dims
    .group_segment_fixed_size: 0
    .kernarg_segment_align: 8
    .kernarg_segment_size: 312
    .language:       OpenCL C
    .language_version:
      - 2
      - 0
    .max_flat_workgroup_size: 1024
    .name:           _ZL25rocblas_symm_scale_kernelILi128ELi8E19rocblas_complex_numIfEPKPS1_EviiT1_T2_llli
    .private_segment_fixed_size: 0
    .sgpr_count:     24
    .sgpr_spill_count: 0
    .symbol:         _ZL25rocblas_symm_scale_kernelILi128ELi8E19rocblas_complex_numIfEPKPS1_EviiT1_T2_llli.kd
    .uniform_work_group_size: 1
    .uses_dynamic_stack: false
    .vgpr_count:     16
    .vgpr_spill_count: 0
    .wavefront_size: 32
  - .args:
      - .offset:         0
        .size:           1
        .value_kind:     by_value
      - .offset:         4
        .size:           4
        .value_kind:     by_value
      - .offset:         8
        .size:           4
        .value_kind:     by_value
      - .offset:         12
        .size:           8
        .value_kind:     by_value
      - .address_space:  global
        .offset:         24
        .size:           8
        .value_kind:     global_buffer
      - .offset:         32
        .size:           8
        .value_kind:     by_value
      - .offset:         40
        .size:           8
        .value_kind:     by_value
      - .offset:         48
        .size:           8
        .value_kind:     by_value
      - .address_space:  global
        .offset:         56
        .size:           8
        .value_kind:     global_buffer
      - .offset:         64
        .size:           8
        .value_kind:     by_value
      - .offset:         72
        .size:           8
        .value_kind:     by_value
      - .offset:         80
        .size:           8
        .value_kind:     by_value
      - .address_space:  global
        .offset:         88
        .size:           8
        .value_kind:     global_buffer
      - .offset:         96
        .size:           8
        .value_kind:     by_value
      - .offset:         104
        .size:           8
        .value_kind:     by_value
      - .offset:         112
        .size:           8
        .value_kind:     by_value
      - .offset:         120
        .size:           4
        .value_kind:     by_value
      - .offset:         128
        .size:           4
        .value_kind:     hidden_block_count_x
      - .offset:         132
        .size:           4
        .value_kind:     hidden_block_count_y
      - .offset:         136
        .size:           4
        .value_kind:     hidden_block_count_z
      - .offset:         140
        .size:           2
        .value_kind:     hidden_group_size_x
      - .offset:         142
        .size:           2
        .value_kind:     hidden_group_size_y
      - .offset:         144
        .size:           2
        .value_kind:     hidden_group_size_z
      - .offset:         146
        .size:           2
        .value_kind:     hidden_remainder_x
      - .offset:         148
        .size:           2
        .value_kind:     hidden_remainder_y
      - .offset:         150
        .size:           2
        .value_kind:     hidden_remainder_z
      - .offset:         168
        .size:           8
        .value_kind:     hidden_global_offset_x
      - .offset:         176
        .size:           8
        .value_kind:     hidden_global_offset_y
      - .offset:         184
        .size:           8
        .value_kind:     hidden_global_offset_z
      - .offset:         192
        .size:           2
        .value_kind:     hidden_grid_dims
    .group_segment_fixed_size: 16384
    .kernarg_segment_align: 8
    .kernarg_segment_size: 384
    .language:       OpenCL C
    .language_version:
      - 2
      - 0
    .max_flat_workgroup_size: 1024
    .name:           _ZL24rocblas_symm_hemm_kernelILb0ELb0ELi32E19rocblas_complex_numIfEPKPKS1_PKPS1_EvbiiT2_T3_lllSA_lllT4_llli
    .private_segment_fixed_size: 0
    .sgpr_count:     43
    .sgpr_spill_count: 0
    .symbol:         _ZL24rocblas_symm_hemm_kernelILb0ELb0ELi32E19rocblas_complex_numIfEPKPKS1_PKPS1_EvbiiT2_T3_lllSA_lllT4_llli.kd
    .uniform_work_group_size: 1
    .uses_dynamic_stack: false
    .vgpr_count:     50
    .vgpr_spill_count: 0
    .wavefront_size: 32
  - .args:
      - .offset:         0
        .size:           1
        .value_kind:     by_value
      - .offset:         4
        .size:           4
        .value_kind:     by_value
      - .offset:         8
        .size:           4
        .value_kind:     by_value
      - .offset:         12
        .size:           8
        .value_kind:     by_value
      - .address_space:  global
        .offset:         24
        .size:           8
        .value_kind:     global_buffer
      - .offset:         32
        .size:           8
        .value_kind:     by_value
      - .offset:         40
        .size:           8
        .value_kind:     by_value
      - .offset:         48
        .size:           8
        .value_kind:     by_value
      - .address_space:  global
        .offset:         56
        .size:           8
        .value_kind:     global_buffer
      - .offset:         64
        .size:           8
        .value_kind:     by_value
      - .offset:         72
        .size:           8
        .value_kind:     by_value
      - .offset:         80
        .size:           8
        .value_kind:     by_value
      - .address_space:  global
        .offset:         88
        .size:           8
        .value_kind:     global_buffer
      - .offset:         96
        .size:           8
        .value_kind:     by_value
      - .offset:         104
        .size:           8
        .value_kind:     by_value
      - .offset:         112
        .size:           8
        .value_kind:     by_value
      - .offset:         120
        .size:           4
        .value_kind:     by_value
      - .offset:         128
        .size:           4
        .value_kind:     hidden_block_count_x
      - .offset:         132
        .size:           4
        .value_kind:     hidden_block_count_y
      - .offset:         136
        .size:           4
        .value_kind:     hidden_block_count_z
      - .offset:         140
        .size:           2
        .value_kind:     hidden_group_size_x
      - .offset:         142
        .size:           2
        .value_kind:     hidden_group_size_y
      - .offset:         144
        .size:           2
        .value_kind:     hidden_group_size_z
      - .offset:         146
        .size:           2
        .value_kind:     hidden_remainder_x
      - .offset:         148
        .size:           2
        .value_kind:     hidden_remainder_y
      - .offset:         150
        .size:           2
        .value_kind:     hidden_remainder_z
      - .offset:         168
        .size:           8
        .value_kind:     hidden_global_offset_x
      - .offset:         176
        .size:           8
        .value_kind:     hidden_global_offset_y
      - .offset:         184
        .size:           8
        .value_kind:     hidden_global_offset_z
      - .offset:         192
        .size:           2
        .value_kind:     hidden_grid_dims
    .group_segment_fixed_size: 16384
    .kernarg_segment_align: 8
    .kernarg_segment_size: 384
    .language:       OpenCL C
    .language_version:
      - 2
      - 0
    .max_flat_workgroup_size: 1024
    .name:           _ZL24rocblas_symm_hemm_kernelILb0ELb1ELi32E19rocblas_complex_numIfEPKPKS1_PKPS1_EvbiiT2_T3_lllSA_lllT4_llli
    .private_segment_fixed_size: 0
    .sgpr_count:     42
    .sgpr_spill_count: 0
    .symbol:         _ZL24rocblas_symm_hemm_kernelILb0ELb1ELi32E19rocblas_complex_numIfEPKPKS1_PKPS1_EvbiiT2_T3_lllSA_lllT4_llli.kd
    .uniform_work_group_size: 1
    .uses_dynamic_stack: false
    .vgpr_count:     50
    .vgpr_spill_count: 0
    .wavefront_size: 32
  - .args:
      - .offset:         0
        .size:           4
        .value_kind:     by_value
      - .offset:         4
        .size:           4
        .value_kind:     by_value
      - .address_space:  global
        .offset:         8
        .size:           8
        .value_kind:     global_buffer
      - .address_space:  global
        .offset:         16
        .size:           8
        .value_kind:     global_buffer
      - .offset:         24
        .size:           8
        .value_kind:     by_value
      - .offset:         32
        .size:           8
        .value_kind:     by_value
      - .offset:         40
        .size:           8
        .value_kind:     by_value
      - .offset:         48
        .size:           4
        .value_kind:     by_value
      - .offset:         56
        .size:           4
        .value_kind:     hidden_block_count_x
      - .offset:         60
        .size:           4
        .value_kind:     hidden_block_count_y
      - .offset:         64
        .size:           4
        .value_kind:     hidden_block_count_z
      - .offset:         68
        .size:           2
        .value_kind:     hidden_group_size_x
      - .offset:         70
        .size:           2
        .value_kind:     hidden_group_size_y
      - .offset:         72
        .size:           2
        .value_kind:     hidden_group_size_z
      - .offset:         74
        .size:           2
        .value_kind:     hidden_remainder_x
      - .offset:         76
        .size:           2
        .value_kind:     hidden_remainder_y
      - .offset:         78
        .size:           2
        .value_kind:     hidden_remainder_z
      - .offset:         96
        .size:           8
        .value_kind:     hidden_global_offset_x
      - .offset:         104
        .size:           8
        .value_kind:     hidden_global_offset_y
      - .offset:         112
        .size:           8
        .value_kind:     hidden_global_offset_z
      - .offset:         120
        .size:           2
        .value_kind:     hidden_grid_dims
    .group_segment_fixed_size: 0
    .kernarg_segment_align: 8
    .kernarg_segment_size: 312
    .language:       OpenCL C
    .language_version:
      - 2
      - 0
    .max_flat_workgroup_size: 1024
    .name:           _ZL25rocblas_symm_scale_kernelILi128ELi8EPK19rocblas_complex_numIdEPKPS1_EviiT1_T2_llli
    .private_segment_fixed_size: 0
    .sgpr_count:     25
    .sgpr_spill_count: 0
    .symbol:         _ZL25rocblas_symm_scale_kernelILi128ELi8EPK19rocblas_complex_numIdEPKPS1_EviiT1_T2_llli.kd
    .uniform_work_group_size: 1
    .uses_dynamic_stack: false
    .vgpr_count:     16
    .vgpr_spill_count: 0
    .wavefront_size: 32
  - .args:
      - .offset:         0
        .size:           1
        .value_kind:     by_value
      - .offset:         4
        .size:           4
        .value_kind:     by_value
      - .offset:         8
        .size:           4
        .value_kind:     by_value
      - .address_space:  global
        .offset:         16
        .size:           8
        .value_kind:     global_buffer
      - .address_space:  global
        .offset:         24
        .size:           8
        .value_kind:     global_buffer
      - .offset:         32
        .size:           8
        .value_kind:     by_value
      - .offset:         40
        .size:           8
        .value_kind:     by_value
      - .offset:         48
        .size:           8
        .value_kind:     by_value
      - .address_space:  global
        .offset:         56
        .size:           8
        .value_kind:     global_buffer
      - .offset:         64
        .size:           8
        .value_kind:     by_value
      - .offset:         72
        .size:           8
        .value_kind:     by_value
      - .offset:         80
        .size:           8
        .value_kind:     by_value
      - .address_space:  global
        .offset:         88
        .size:           8
        .value_kind:     global_buffer
      - .offset:         96
        .size:           8
        .value_kind:     by_value
      - .offset:         104
        .size:           8
        .value_kind:     by_value
      - .offset:         112
        .size:           8
        .value_kind:     by_value
      - .offset:         120
        .size:           4
        .value_kind:     by_value
      - .offset:         128
        .size:           4
        .value_kind:     hidden_block_count_x
      - .offset:         132
        .size:           4
        .value_kind:     hidden_block_count_y
      - .offset:         136
        .size:           4
        .value_kind:     hidden_block_count_z
      - .offset:         140
        .size:           2
        .value_kind:     hidden_group_size_x
      - .offset:         142
        .size:           2
        .value_kind:     hidden_group_size_y
      - .offset:         144
        .size:           2
        .value_kind:     hidden_group_size_z
      - .offset:         146
        .size:           2
        .value_kind:     hidden_remainder_x
      - .offset:         148
        .size:           2
        .value_kind:     hidden_remainder_y
      - .offset:         150
        .size:           2
        .value_kind:     hidden_remainder_z
      - .offset:         168
        .size:           8
        .value_kind:     hidden_global_offset_x
      - .offset:         176
        .size:           8
        .value_kind:     hidden_global_offset_y
      - .offset:         184
        .size:           8
        .value_kind:     hidden_global_offset_z
      - .offset:         192
        .size:           2
        .value_kind:     hidden_grid_dims
    .group_segment_fixed_size: 32768
    .kernarg_segment_align: 8
    .kernarg_segment_size: 384
    .language:       OpenCL C
    .language_version:
      - 2
      - 0
    .max_flat_workgroup_size: 1024
    .name:           _ZL24rocblas_symm_hemm_kernelILb0ELb0ELi32EPK19rocblas_complex_numIdEPKS3_PKPS1_EvbiiT2_T3_lllSA_lllT4_llli
    .private_segment_fixed_size: 0
    .sgpr_count:     47
    .sgpr_spill_count: 0
    .symbol:         _ZL24rocblas_symm_hemm_kernelILb0ELb0ELi32EPK19rocblas_complex_numIdEPKS3_PKPS1_EvbiiT2_T3_lllSA_lllT4_llli.kd
    .uniform_work_group_size: 1
    .uses_dynamic_stack: false
    .vgpr_count:     54
    .vgpr_spill_count: 0
    .wavefront_size: 32
  - .args:
      - .offset:         0
        .size:           1
        .value_kind:     by_value
      - .offset:         4
        .size:           4
        .value_kind:     by_value
      - .offset:         8
        .size:           4
        .value_kind:     by_value
      - .address_space:  global
        .offset:         16
        .size:           8
        .value_kind:     global_buffer
      - .address_space:  global
        .offset:         24
        .size:           8
        .value_kind:     global_buffer
      - .offset:         32
        .size:           8
        .value_kind:     by_value
      - .offset:         40
        .size:           8
        .value_kind:     by_value
      - .offset:         48
        .size:           8
        .value_kind:     by_value
      - .address_space:  global
        .offset:         56
        .size:           8
        .value_kind:     global_buffer
      - .offset:         64
        .size:           8
        .value_kind:     by_value
      - .offset:         72
        .size:           8
        .value_kind:     by_value
      - .offset:         80
        .size:           8
        .value_kind:     by_value
      - .address_space:  global
        .offset:         88
        .size:           8
        .value_kind:     global_buffer
      - .offset:         96
        .size:           8
        .value_kind:     by_value
      - .offset:         104
        .size:           8
        .value_kind:     by_value
      - .offset:         112
        .size:           8
        .value_kind:     by_value
      - .offset:         120
        .size:           4
        .value_kind:     by_value
      - .offset:         128
        .size:           4
        .value_kind:     hidden_block_count_x
      - .offset:         132
        .size:           4
        .value_kind:     hidden_block_count_y
      - .offset:         136
        .size:           4
        .value_kind:     hidden_block_count_z
      - .offset:         140
        .size:           2
        .value_kind:     hidden_group_size_x
      - .offset:         142
        .size:           2
        .value_kind:     hidden_group_size_y
      - .offset:         144
        .size:           2
        .value_kind:     hidden_group_size_z
      - .offset:         146
        .size:           2
        .value_kind:     hidden_remainder_x
      - .offset:         148
        .size:           2
        .value_kind:     hidden_remainder_y
      - .offset:         150
        .size:           2
        .value_kind:     hidden_remainder_z
      - .offset:         168
        .size:           8
        .value_kind:     hidden_global_offset_x
      - .offset:         176
        .size:           8
        .value_kind:     hidden_global_offset_y
      - .offset:         184
        .size:           8
        .value_kind:     hidden_global_offset_z
      - .offset:         192
        .size:           2
        .value_kind:     hidden_grid_dims
    .group_segment_fixed_size: 32768
    .kernarg_segment_align: 8
    .kernarg_segment_size: 384
    .language:       OpenCL C
    .language_version:
      - 2
      - 0
    .max_flat_workgroup_size: 1024
    .name:           _ZL24rocblas_symm_hemm_kernelILb0ELb1ELi32EPK19rocblas_complex_numIdEPKS3_PKPS1_EvbiiT2_T3_lllSA_lllT4_llli
    .private_segment_fixed_size: 0
    .sgpr_count:     44
    .sgpr_spill_count: 0
    .symbol:         _ZL24rocblas_symm_hemm_kernelILb0ELb1ELi32EPK19rocblas_complex_numIdEPKS3_PKPS1_EvbiiT2_T3_lllSA_lllT4_llli.kd
    .uniform_work_group_size: 1
    .uses_dynamic_stack: false
    .vgpr_count:     56
    .vgpr_spill_count: 0
    .wavefront_size: 32
  - .args:
      - .offset:         0
        .size:           4
        .value_kind:     by_value
      - .offset:         4
        .size:           4
        .value_kind:     by_value
      - .offset:         8
        .size:           16
        .value_kind:     by_value
      - .address_space:  global
        .offset:         24
        .size:           8
        .value_kind:     global_buffer
      - .offset:         32
        .size:           8
        .value_kind:     by_value
      - .offset:         40
        .size:           8
        .value_kind:     by_value
      - .offset:         48
        .size:           8
        .value_kind:     by_value
      - .offset:         56
        .size:           4
        .value_kind:     by_value
      - .offset:         64
        .size:           4
        .value_kind:     hidden_block_count_x
      - .offset:         68
        .size:           4
        .value_kind:     hidden_block_count_y
      - .offset:         72
        .size:           4
        .value_kind:     hidden_block_count_z
      - .offset:         76
        .size:           2
        .value_kind:     hidden_group_size_x
      - .offset:         78
        .size:           2
        .value_kind:     hidden_group_size_y
      - .offset:         80
        .size:           2
        .value_kind:     hidden_group_size_z
      - .offset:         82
        .size:           2
        .value_kind:     hidden_remainder_x
      - .offset:         84
        .size:           2
        .value_kind:     hidden_remainder_y
      - .offset:         86
        .size:           2
        .value_kind:     hidden_remainder_z
      - .offset:         104
        .size:           8
        .value_kind:     hidden_global_offset_x
      - .offset:         112
        .size:           8
        .value_kind:     hidden_global_offset_y
      - .offset:         120
        .size:           8
        .value_kind:     hidden_global_offset_z
      - .offset:         128
        .size:           2
        .value_kind:     hidden_grid_dims
    .group_segment_fixed_size: 0
    .kernarg_segment_align: 8
    .kernarg_segment_size: 320
    .language:       OpenCL C
    .language_version:
      - 2
      - 0
    .max_flat_workgroup_size: 1024
    .name:           _ZL25rocblas_symm_scale_kernelILi128ELi8E19rocblas_complex_numIdEPKPS1_EviiT1_T2_llli
    .private_segment_fixed_size: 0
    .sgpr_count:     24
    .sgpr_spill_count: 0
    .symbol:         _ZL25rocblas_symm_scale_kernelILi128ELi8E19rocblas_complex_numIdEPKPS1_EviiT1_T2_llli.kd
    .uniform_work_group_size: 1
    .uses_dynamic_stack: false
    .vgpr_count:     16
    .vgpr_spill_count: 0
    .wavefront_size: 32
  - .args:
      - .offset:         0
        .size:           1
        .value_kind:     by_value
      - .offset:         4
        .size:           4
        .value_kind:     by_value
      - .offset:         8
        .size:           4
        .value_kind:     by_value
      - .offset:         16
        .size:           16
        .value_kind:     by_value
      - .address_space:  global
        .offset:         32
        .size:           8
        .value_kind:     global_buffer
      - .offset:         40
        .size:           8
        .value_kind:     by_value
      - .offset:         48
        .size:           8
        .value_kind:     by_value
      - .offset:         56
        .size:           8
        .value_kind:     by_value
      - .address_space:  global
        .offset:         64
        .size:           8
        .value_kind:     global_buffer
      - .offset:         72
        .size:           8
        .value_kind:     by_value
      - .offset:         80
        .size:           8
        .value_kind:     by_value
      - .offset:         88
        .size:           8
        .value_kind:     by_value
      - .address_space:  global
        .offset:         96
        .size:           8
        .value_kind:     global_buffer
      - .offset:         104
        .size:           8
        .value_kind:     by_value
      - .offset:         112
        .size:           8
        .value_kind:     by_value
      - .offset:         120
        .size:           8
        .value_kind:     by_value
      - .offset:         128
        .size:           4
        .value_kind:     by_value
      - .offset:         136
        .size:           4
        .value_kind:     hidden_block_count_x
      - .offset:         140
        .size:           4
        .value_kind:     hidden_block_count_y
      - .offset:         144
        .size:           4
        .value_kind:     hidden_block_count_z
      - .offset:         148
        .size:           2
        .value_kind:     hidden_group_size_x
      - .offset:         150
        .size:           2
        .value_kind:     hidden_group_size_y
      - .offset:         152
        .size:           2
        .value_kind:     hidden_group_size_z
      - .offset:         154
        .size:           2
        .value_kind:     hidden_remainder_x
      - .offset:         156
        .size:           2
        .value_kind:     hidden_remainder_y
      - .offset:         158
        .size:           2
        .value_kind:     hidden_remainder_z
      - .offset:         176
        .size:           8
        .value_kind:     hidden_global_offset_x
      - .offset:         184
        .size:           8
        .value_kind:     hidden_global_offset_y
      - .offset:         192
        .size:           8
        .value_kind:     hidden_global_offset_z
      - .offset:         200
        .size:           2
        .value_kind:     hidden_grid_dims
    .group_segment_fixed_size: 32768
    .kernarg_segment_align: 8
    .kernarg_segment_size: 392
    .language:       OpenCL C
    .language_version:
      - 2
      - 0
    .max_flat_workgroup_size: 1024
    .name:           _ZL24rocblas_symm_hemm_kernelILb0ELb0ELi32E19rocblas_complex_numIdEPKPKS1_PKPS1_EvbiiT2_T3_lllSA_lllT4_llli
    .private_segment_fixed_size: 0
    .sgpr_count:     47
    .sgpr_spill_count: 0
    .symbol:         _ZL24rocblas_symm_hemm_kernelILb0ELb0ELi32E19rocblas_complex_numIdEPKPKS1_PKPS1_EvbiiT2_T3_lllSA_lllT4_llli.kd
    .uniform_work_group_size: 1
    .uses_dynamic_stack: false
    .vgpr_count:     54
    .vgpr_spill_count: 0
    .wavefront_size: 32
  - .args:
      - .offset:         0
        .size:           1
        .value_kind:     by_value
      - .offset:         4
        .size:           4
        .value_kind:     by_value
      - .offset:         8
        .size:           4
        .value_kind:     by_value
      - .offset:         16
        .size:           16
        .value_kind:     by_value
      - .address_space:  global
        .offset:         32
        .size:           8
        .value_kind:     global_buffer
      - .offset:         40
        .size:           8
        .value_kind:     by_value
      - .offset:         48
        .size:           8
        .value_kind:     by_value
      - .offset:         56
        .size:           8
        .value_kind:     by_value
      - .address_space:  global
        .offset:         64
        .size:           8
        .value_kind:     global_buffer
      - .offset:         72
        .size:           8
        .value_kind:     by_value
      - .offset:         80
        .size:           8
        .value_kind:     by_value
      - .offset:         88
        .size:           8
        .value_kind:     by_value
      - .address_space:  global
        .offset:         96
        .size:           8
        .value_kind:     global_buffer
      - .offset:         104
        .size:           8
        .value_kind:     by_value
      - .offset:         112
        .size:           8
        .value_kind:     by_value
      - .offset:         120
        .size:           8
        .value_kind:     by_value
      - .offset:         128
        .size:           4
        .value_kind:     by_value
      - .offset:         136
        .size:           4
        .value_kind:     hidden_block_count_x
      - .offset:         140
        .size:           4
        .value_kind:     hidden_block_count_y
      - .offset:         144
        .size:           4
        .value_kind:     hidden_block_count_z
      - .offset:         148
        .size:           2
        .value_kind:     hidden_group_size_x
      - .offset:         150
        .size:           2
        .value_kind:     hidden_group_size_y
      - .offset:         152
        .size:           2
        .value_kind:     hidden_group_size_z
      - .offset:         154
        .size:           2
        .value_kind:     hidden_remainder_x
      - .offset:         156
        .size:           2
        .value_kind:     hidden_remainder_y
      - .offset:         158
        .size:           2
        .value_kind:     hidden_remainder_z
      - .offset:         176
        .size:           8
        .value_kind:     hidden_global_offset_x
      - .offset:         184
        .size:           8
        .value_kind:     hidden_global_offset_y
      - .offset:         192
        .size:           8
        .value_kind:     hidden_global_offset_z
      - .offset:         200
        .size:           2
        .value_kind:     hidden_grid_dims
    .group_segment_fixed_size: 32768
    .kernarg_segment_align: 8
    .kernarg_segment_size: 392
    .language:       OpenCL C
    .language_version:
      - 2
      - 0
    .max_flat_workgroup_size: 1024
    .name:           _ZL24rocblas_symm_hemm_kernelILb0ELb1ELi32E19rocblas_complex_numIdEPKPKS1_PKPS1_EvbiiT2_T3_lllSA_lllT4_llli
    .private_segment_fixed_size: 0
    .sgpr_count:     44
    .sgpr_spill_count: 0
    .symbol:         _ZL24rocblas_symm_hemm_kernelILb0ELb1ELi32E19rocblas_complex_numIdEPKPKS1_PKPS1_EvbiiT2_T3_lllSA_lllT4_llli.kd
    .uniform_work_group_size: 1
    .uses_dynamic_stack: false
    .vgpr_count:     56
    .vgpr_spill_count: 0
    .wavefront_size: 32
  - .args:
      - .offset:         0
        .size:           1
        .value_kind:     by_value
      - .offset:         4
        .size:           4
        .value_kind:     by_value
      - .offset:         8
        .size:           4
        .value_kind:     by_value
      - .address_space:  global
        .offset:         16
        .size:           8
        .value_kind:     global_buffer
      - .address_space:  global
        .offset:         24
        .size:           8
        .value_kind:     global_buffer
      - .offset:         32
        .size:           8
        .value_kind:     by_value
      - .offset:         40
        .size:           8
        .value_kind:     by_value
      - .offset:         48
        .size:           8
        .value_kind:     by_value
      - .address_space:  global
        .offset:         56
        .size:           8
        .value_kind:     global_buffer
      - .offset:         64
        .size:           8
        .value_kind:     by_value
      - .offset:         72
        .size:           8
        .value_kind:     by_value
      - .offset:         80
        .size:           8
        .value_kind:     by_value
      - .address_space:  global
        .offset:         88
        .size:           8
        .value_kind:     global_buffer
      - .offset:         96
        .size:           8
        .value_kind:     by_value
      - .offset:         104
        .size:           8
        .value_kind:     by_value
      - .offset:         112
        .size:           8
        .value_kind:     by_value
      - .offset:         120
        .size:           4
        .value_kind:     by_value
      - .offset:         128
        .size:           4
        .value_kind:     hidden_block_count_x
      - .offset:         132
        .size:           4
        .value_kind:     hidden_block_count_y
      - .offset:         136
        .size:           4
        .value_kind:     hidden_block_count_z
      - .offset:         140
        .size:           2
        .value_kind:     hidden_group_size_x
      - .offset:         142
        .size:           2
        .value_kind:     hidden_group_size_y
      - .offset:         144
        .size:           2
        .value_kind:     hidden_group_size_z
      - .offset:         146
        .size:           2
        .value_kind:     hidden_remainder_x
      - .offset:         148
        .size:           2
        .value_kind:     hidden_remainder_y
      - .offset:         150
        .size:           2
        .value_kind:     hidden_remainder_z
      - .offset:         168
        .size:           8
        .value_kind:     hidden_global_offset_x
      - .offset:         176
        .size:           8
        .value_kind:     hidden_global_offset_y
      - .offset:         184
        .size:           8
        .value_kind:     hidden_global_offset_z
      - .offset:         192
        .size:           2
        .value_kind:     hidden_grid_dims
    .group_segment_fixed_size: 16384
    .kernarg_segment_align: 8
    .kernarg_segment_size: 384
    .language:       OpenCL C
    .language_version:
      - 2
      - 0
    .max_flat_workgroup_size: 1024
    .name:           _ZL24rocblas_symm_hemm_kernelILb1ELb0ELi32EPK19rocblas_complex_numIfEPKS3_PKPS1_EvbiiT2_T3_lllSA_lllT4_llli
    .private_segment_fixed_size: 0
    .sgpr_count:     45
    .sgpr_spill_count: 0
    .symbol:         _ZL24rocblas_symm_hemm_kernelILb1ELb0ELi32EPK19rocblas_complex_numIfEPKS3_PKPS1_EvbiiT2_T3_lllSA_lllT4_llli.kd
    .uniform_work_group_size: 1
    .uses_dynamic_stack: false
    .vgpr_count:     57
    .vgpr_spill_count: 0
    .wavefront_size: 32
  - .args:
      - .offset:         0
        .size:           1
        .value_kind:     by_value
      - .offset:         4
        .size:           4
        .value_kind:     by_value
      - .offset:         8
        .size:           4
        .value_kind:     by_value
      - .address_space:  global
        .offset:         16
        .size:           8
        .value_kind:     global_buffer
      - .address_space:  global
        .offset:         24
        .size:           8
        .value_kind:     global_buffer
      - .offset:         32
        .size:           8
        .value_kind:     by_value
      - .offset:         40
        .size:           8
        .value_kind:     by_value
      - .offset:         48
        .size:           8
        .value_kind:     by_value
      - .address_space:  global
        .offset:         56
        .size:           8
        .value_kind:     global_buffer
      - .offset:         64
        .size:           8
        .value_kind:     by_value
      - .offset:         72
        .size:           8
        .value_kind:     by_value
      - .offset:         80
        .size:           8
        .value_kind:     by_value
      - .address_space:  global
        .offset:         88
        .size:           8
        .value_kind:     global_buffer
      - .offset:         96
        .size:           8
        .value_kind:     by_value
      - .offset:         104
        .size:           8
        .value_kind:     by_value
      - .offset:         112
        .size:           8
        .value_kind:     by_value
      - .offset:         120
        .size:           4
        .value_kind:     by_value
      - .offset:         128
        .size:           4
        .value_kind:     hidden_block_count_x
      - .offset:         132
        .size:           4
        .value_kind:     hidden_block_count_y
      - .offset:         136
        .size:           4
        .value_kind:     hidden_block_count_z
      - .offset:         140
        .size:           2
        .value_kind:     hidden_group_size_x
      - .offset:         142
        .size:           2
        .value_kind:     hidden_group_size_y
      - .offset:         144
        .size:           2
        .value_kind:     hidden_group_size_z
      - .offset:         146
        .size:           2
        .value_kind:     hidden_remainder_x
      - .offset:         148
        .size:           2
        .value_kind:     hidden_remainder_y
      - .offset:         150
        .size:           2
        .value_kind:     hidden_remainder_z
      - .offset:         168
        .size:           8
        .value_kind:     hidden_global_offset_x
      - .offset:         176
        .size:           8
        .value_kind:     hidden_global_offset_y
      - .offset:         184
        .size:           8
        .value_kind:     hidden_global_offset_z
      - .offset:         192
        .size:           2
        .value_kind:     hidden_grid_dims
    .group_segment_fixed_size: 16384
    .kernarg_segment_align: 8
    .kernarg_segment_size: 384
    .language:       OpenCL C
    .language_version:
      - 2
      - 0
    .max_flat_workgroup_size: 1024
    .name:           _ZL24rocblas_symm_hemm_kernelILb1ELb1ELi32EPK19rocblas_complex_numIfEPKS3_PKPS1_EvbiiT2_T3_lllSA_lllT4_llli
    .private_segment_fixed_size: 0
    .sgpr_count:     44
    .sgpr_spill_count: 0
    .symbol:         _ZL24rocblas_symm_hemm_kernelILb1ELb1ELi32EPK19rocblas_complex_numIfEPKS3_PKPS1_EvbiiT2_T3_lllSA_lllT4_llli.kd
    .uniform_work_group_size: 1
    .uses_dynamic_stack: false
    .vgpr_count:     58
    .vgpr_spill_count: 0
    .wavefront_size: 32
  - .args:
      - .offset:         0
        .size:           1
        .value_kind:     by_value
      - .offset:         4
        .size:           4
        .value_kind:     by_value
      - .offset:         8
        .size:           4
        .value_kind:     by_value
      - .offset:         12
        .size:           8
        .value_kind:     by_value
      - .address_space:  global
        .offset:         24
        .size:           8
        .value_kind:     global_buffer
      - .offset:         32
        .size:           8
        .value_kind:     by_value
      - .offset:         40
        .size:           8
        .value_kind:     by_value
      - .offset:         48
        .size:           8
        .value_kind:     by_value
      - .address_space:  global
        .offset:         56
        .size:           8
        .value_kind:     global_buffer
      - .offset:         64
        .size:           8
        .value_kind:     by_value
      - .offset:         72
        .size:           8
        .value_kind:     by_value
      - .offset:         80
        .size:           8
        .value_kind:     by_value
      - .address_space:  global
        .offset:         88
        .size:           8
        .value_kind:     global_buffer
      - .offset:         96
        .size:           8
        .value_kind:     by_value
      - .offset:         104
        .size:           8
        .value_kind:     by_value
      - .offset:         112
        .size:           8
        .value_kind:     by_value
      - .offset:         120
        .size:           4
        .value_kind:     by_value
      - .offset:         128
        .size:           4
        .value_kind:     hidden_block_count_x
      - .offset:         132
        .size:           4
        .value_kind:     hidden_block_count_y
      - .offset:         136
        .size:           4
        .value_kind:     hidden_block_count_z
      - .offset:         140
        .size:           2
        .value_kind:     hidden_group_size_x
      - .offset:         142
        .size:           2
        .value_kind:     hidden_group_size_y
      - .offset:         144
        .size:           2
        .value_kind:     hidden_group_size_z
      - .offset:         146
        .size:           2
        .value_kind:     hidden_remainder_x
      - .offset:         148
        .size:           2
        .value_kind:     hidden_remainder_y
      - .offset:         150
        .size:           2
        .value_kind:     hidden_remainder_z
      - .offset:         168
        .size:           8
        .value_kind:     hidden_global_offset_x
      - .offset:         176
        .size:           8
        .value_kind:     hidden_global_offset_y
      - .offset:         184
        .size:           8
        .value_kind:     hidden_global_offset_z
      - .offset:         192
        .size:           2
        .value_kind:     hidden_grid_dims
    .group_segment_fixed_size: 16384
    .kernarg_segment_align: 8
    .kernarg_segment_size: 384
    .language:       OpenCL C
    .language_version:
      - 2
      - 0
    .max_flat_workgroup_size: 1024
    .name:           _ZL24rocblas_symm_hemm_kernelILb1ELb0ELi32E19rocblas_complex_numIfEPKPKS1_PKPS1_EvbiiT2_T3_lllSA_lllT4_llli
    .private_segment_fixed_size: 0
    .sgpr_count:     45
    .sgpr_spill_count: 0
    .symbol:         _ZL24rocblas_symm_hemm_kernelILb1ELb0ELi32E19rocblas_complex_numIfEPKPKS1_PKPS1_EvbiiT2_T3_lllSA_lllT4_llli.kd
    .uniform_work_group_size: 1
    .uses_dynamic_stack: false
    .vgpr_count:     57
    .vgpr_spill_count: 0
    .wavefront_size: 32
  - .args:
      - .offset:         0
        .size:           1
        .value_kind:     by_value
      - .offset:         4
        .size:           4
        .value_kind:     by_value
      - .offset:         8
        .size:           4
        .value_kind:     by_value
      - .offset:         12
        .size:           8
        .value_kind:     by_value
      - .address_space:  global
        .offset:         24
        .size:           8
        .value_kind:     global_buffer
      - .offset:         32
        .size:           8
        .value_kind:     by_value
      - .offset:         40
        .size:           8
        .value_kind:     by_value
      - .offset:         48
        .size:           8
        .value_kind:     by_value
      - .address_space:  global
        .offset:         56
        .size:           8
        .value_kind:     global_buffer
      - .offset:         64
        .size:           8
        .value_kind:     by_value
      - .offset:         72
        .size:           8
        .value_kind:     by_value
      - .offset:         80
        .size:           8
        .value_kind:     by_value
      - .address_space:  global
        .offset:         88
        .size:           8
        .value_kind:     global_buffer
      - .offset:         96
        .size:           8
        .value_kind:     by_value
      - .offset:         104
        .size:           8
        .value_kind:     by_value
      - .offset:         112
        .size:           8
        .value_kind:     by_value
      - .offset:         120
        .size:           4
        .value_kind:     by_value
      - .offset:         128
        .size:           4
        .value_kind:     hidden_block_count_x
      - .offset:         132
        .size:           4
        .value_kind:     hidden_block_count_y
      - .offset:         136
        .size:           4
        .value_kind:     hidden_block_count_z
      - .offset:         140
        .size:           2
        .value_kind:     hidden_group_size_x
      - .offset:         142
        .size:           2
        .value_kind:     hidden_group_size_y
      - .offset:         144
        .size:           2
        .value_kind:     hidden_group_size_z
      - .offset:         146
        .size:           2
        .value_kind:     hidden_remainder_x
      - .offset:         148
        .size:           2
        .value_kind:     hidden_remainder_y
      - .offset:         150
        .size:           2
        .value_kind:     hidden_remainder_z
      - .offset:         168
        .size:           8
        .value_kind:     hidden_global_offset_x
      - .offset:         176
        .size:           8
        .value_kind:     hidden_global_offset_y
      - .offset:         184
        .size:           8
        .value_kind:     hidden_global_offset_z
      - .offset:         192
        .size:           2
        .value_kind:     hidden_grid_dims
    .group_segment_fixed_size: 16384
    .kernarg_segment_align: 8
    .kernarg_segment_size: 384
    .language:       OpenCL C
    .language_version:
      - 2
      - 0
    .max_flat_workgroup_size: 1024
    .name:           _ZL24rocblas_symm_hemm_kernelILb1ELb1ELi32E19rocblas_complex_numIfEPKPKS1_PKPS1_EvbiiT2_T3_lllSA_lllT4_llli
    .private_segment_fixed_size: 0
    .sgpr_count:     44
    .sgpr_spill_count: 0
    .symbol:         _ZL24rocblas_symm_hemm_kernelILb1ELb1ELi32E19rocblas_complex_numIfEPKPKS1_PKPS1_EvbiiT2_T3_lllSA_lllT4_llli.kd
    .uniform_work_group_size: 1
    .uses_dynamic_stack: false
    .vgpr_count:     58
    .vgpr_spill_count: 0
    .wavefront_size: 32
  - .args:
      - .offset:         0
        .size:           1
        .value_kind:     by_value
      - .offset:         4
        .size:           4
        .value_kind:     by_value
      - .offset:         8
        .size:           4
        .value_kind:     by_value
      - .address_space:  global
        .offset:         16
        .size:           8
        .value_kind:     global_buffer
      - .address_space:  global
        .offset:         24
        .size:           8
        .value_kind:     global_buffer
      - .offset:         32
        .size:           8
        .value_kind:     by_value
      - .offset:         40
        .size:           8
        .value_kind:     by_value
      - .offset:         48
        .size:           8
        .value_kind:     by_value
      - .address_space:  global
        .offset:         56
        .size:           8
        .value_kind:     global_buffer
      - .offset:         64
        .size:           8
        .value_kind:     by_value
      - .offset:         72
        .size:           8
        .value_kind:     by_value
      - .offset:         80
        .size:           8
        .value_kind:     by_value
      - .address_space:  global
        .offset:         88
        .size:           8
        .value_kind:     global_buffer
      - .offset:         96
        .size:           8
        .value_kind:     by_value
      - .offset:         104
        .size:           8
        .value_kind:     by_value
      - .offset:         112
        .size:           8
        .value_kind:     by_value
      - .offset:         120
        .size:           4
        .value_kind:     by_value
      - .offset:         128
        .size:           4
        .value_kind:     hidden_block_count_x
      - .offset:         132
        .size:           4
        .value_kind:     hidden_block_count_y
      - .offset:         136
        .size:           4
        .value_kind:     hidden_block_count_z
      - .offset:         140
        .size:           2
        .value_kind:     hidden_group_size_x
      - .offset:         142
        .size:           2
        .value_kind:     hidden_group_size_y
      - .offset:         144
        .size:           2
        .value_kind:     hidden_group_size_z
      - .offset:         146
        .size:           2
        .value_kind:     hidden_remainder_x
      - .offset:         148
        .size:           2
        .value_kind:     hidden_remainder_y
      - .offset:         150
        .size:           2
        .value_kind:     hidden_remainder_z
      - .offset:         168
        .size:           8
        .value_kind:     hidden_global_offset_x
      - .offset:         176
        .size:           8
        .value_kind:     hidden_global_offset_y
      - .offset:         184
        .size:           8
        .value_kind:     hidden_global_offset_z
      - .offset:         192
        .size:           2
        .value_kind:     hidden_grid_dims
    .group_segment_fixed_size: 32768
    .kernarg_segment_align: 8
    .kernarg_segment_size: 384
    .language:       OpenCL C
    .language_version:
      - 2
      - 0
    .max_flat_workgroup_size: 1024
    .name:           _ZL24rocblas_symm_hemm_kernelILb1ELb0ELi32EPK19rocblas_complex_numIdEPKS3_PKPS1_EvbiiT2_T3_lllSA_lllT4_llli
    .private_segment_fixed_size: 0
    .sgpr_count:     47
    .sgpr_spill_count: 0
    .symbol:         _ZL24rocblas_symm_hemm_kernelILb1ELb0ELi32EPK19rocblas_complex_numIdEPKS3_PKPS1_EvbiiT2_T3_lllSA_lllT4_llli.kd
    .uniform_work_group_size: 1
    .uses_dynamic_stack: false
    .vgpr_count:     64
    .vgpr_spill_count: 0
    .wavefront_size: 32
  - .args:
      - .offset:         0
        .size:           1
        .value_kind:     by_value
      - .offset:         4
        .size:           4
        .value_kind:     by_value
      - .offset:         8
        .size:           4
        .value_kind:     by_value
      - .address_space:  global
        .offset:         16
        .size:           8
        .value_kind:     global_buffer
      - .address_space:  global
        .offset:         24
        .size:           8
        .value_kind:     global_buffer
      - .offset:         32
        .size:           8
        .value_kind:     by_value
      - .offset:         40
        .size:           8
        .value_kind:     by_value
      - .offset:         48
        .size:           8
        .value_kind:     by_value
      - .address_space:  global
        .offset:         56
        .size:           8
        .value_kind:     global_buffer
      - .offset:         64
        .size:           8
        .value_kind:     by_value
      - .offset:         72
        .size:           8
        .value_kind:     by_value
      - .offset:         80
        .size:           8
        .value_kind:     by_value
      - .address_space:  global
        .offset:         88
        .size:           8
        .value_kind:     global_buffer
      - .offset:         96
        .size:           8
        .value_kind:     by_value
      - .offset:         104
        .size:           8
        .value_kind:     by_value
      - .offset:         112
        .size:           8
        .value_kind:     by_value
      - .offset:         120
        .size:           4
        .value_kind:     by_value
      - .offset:         128
        .size:           4
        .value_kind:     hidden_block_count_x
      - .offset:         132
        .size:           4
        .value_kind:     hidden_block_count_y
      - .offset:         136
        .size:           4
        .value_kind:     hidden_block_count_z
      - .offset:         140
        .size:           2
        .value_kind:     hidden_group_size_x
      - .offset:         142
        .size:           2
        .value_kind:     hidden_group_size_y
      - .offset:         144
        .size:           2
        .value_kind:     hidden_group_size_z
      - .offset:         146
        .size:           2
        .value_kind:     hidden_remainder_x
      - .offset:         148
        .size:           2
        .value_kind:     hidden_remainder_y
      - .offset:         150
        .size:           2
        .value_kind:     hidden_remainder_z
      - .offset:         168
        .size:           8
        .value_kind:     hidden_global_offset_x
      - .offset:         176
        .size:           8
        .value_kind:     hidden_global_offset_y
      - .offset:         184
        .size:           8
        .value_kind:     hidden_global_offset_z
      - .offset:         192
        .size:           2
        .value_kind:     hidden_grid_dims
    .group_segment_fixed_size: 32768
    .kernarg_segment_align: 8
    .kernarg_segment_size: 384
    .language:       OpenCL C
    .language_version:
      - 2
      - 0
    .max_flat_workgroup_size: 1024
    .name:           _ZL24rocblas_symm_hemm_kernelILb1ELb1ELi32EPK19rocblas_complex_numIdEPKS3_PKPS1_EvbiiT2_T3_lllSA_lllT4_llli
    .private_segment_fixed_size: 0
    .sgpr_count:     45
    .sgpr_spill_count: 0
    .symbol:         _ZL24rocblas_symm_hemm_kernelILb1ELb1ELi32EPK19rocblas_complex_numIdEPKS3_PKPS1_EvbiiT2_T3_lllSA_lllT4_llli.kd
    .uniform_work_group_size: 1
    .uses_dynamic_stack: false
    .vgpr_count:     62
    .vgpr_spill_count: 0
    .wavefront_size: 32
  - .args:
      - .offset:         0
        .size:           1
        .value_kind:     by_value
      - .offset:         4
        .size:           4
        .value_kind:     by_value
      - .offset:         8
        .size:           4
        .value_kind:     by_value
      - .offset:         16
        .size:           16
        .value_kind:     by_value
      - .address_space:  global
        .offset:         32
        .size:           8
        .value_kind:     global_buffer
      - .offset:         40
        .size:           8
        .value_kind:     by_value
      - .offset:         48
        .size:           8
        .value_kind:     by_value
      - .offset:         56
        .size:           8
        .value_kind:     by_value
      - .address_space:  global
        .offset:         64
        .size:           8
        .value_kind:     global_buffer
      - .offset:         72
        .size:           8
        .value_kind:     by_value
      - .offset:         80
        .size:           8
        .value_kind:     by_value
      - .offset:         88
        .size:           8
        .value_kind:     by_value
      - .address_space:  global
        .offset:         96
        .size:           8
        .value_kind:     global_buffer
      - .offset:         104
        .size:           8
        .value_kind:     by_value
      - .offset:         112
        .size:           8
        .value_kind:     by_value
      - .offset:         120
        .size:           8
        .value_kind:     by_value
      - .offset:         128
        .size:           4
        .value_kind:     by_value
      - .offset:         136
        .size:           4
        .value_kind:     hidden_block_count_x
      - .offset:         140
        .size:           4
        .value_kind:     hidden_block_count_y
      - .offset:         144
        .size:           4
        .value_kind:     hidden_block_count_z
      - .offset:         148
        .size:           2
        .value_kind:     hidden_group_size_x
      - .offset:         150
        .size:           2
        .value_kind:     hidden_group_size_y
      - .offset:         152
        .size:           2
        .value_kind:     hidden_group_size_z
      - .offset:         154
        .size:           2
        .value_kind:     hidden_remainder_x
      - .offset:         156
        .size:           2
        .value_kind:     hidden_remainder_y
      - .offset:         158
        .size:           2
        .value_kind:     hidden_remainder_z
      - .offset:         176
        .size:           8
        .value_kind:     hidden_global_offset_x
      - .offset:         184
        .size:           8
        .value_kind:     hidden_global_offset_y
      - .offset:         192
        .size:           8
        .value_kind:     hidden_global_offset_z
      - .offset:         200
        .size:           2
        .value_kind:     hidden_grid_dims
    .group_segment_fixed_size: 32768
    .kernarg_segment_align: 8
    .kernarg_segment_size: 392
    .language:       OpenCL C
    .language_version:
      - 2
      - 0
    .max_flat_workgroup_size: 1024
    .name:           _ZL24rocblas_symm_hemm_kernelILb1ELb0ELi32E19rocblas_complex_numIdEPKPKS1_PKPS1_EvbiiT2_T3_lllSA_lllT4_llli
    .private_segment_fixed_size: 0
    .sgpr_count:     47
    .sgpr_spill_count: 0
    .symbol:         _ZL24rocblas_symm_hemm_kernelILb1ELb0ELi32E19rocblas_complex_numIdEPKPKS1_PKPS1_EvbiiT2_T3_lllSA_lllT4_llli.kd
    .uniform_work_group_size: 1
    .uses_dynamic_stack: false
    .vgpr_count:     64
    .vgpr_spill_count: 0
    .wavefront_size: 32
  - .args:
      - .offset:         0
        .size:           1
        .value_kind:     by_value
      - .offset:         4
        .size:           4
        .value_kind:     by_value
      - .offset:         8
        .size:           4
        .value_kind:     by_value
      - .offset:         16
        .size:           16
        .value_kind:     by_value
      - .address_space:  global
        .offset:         32
        .size:           8
        .value_kind:     global_buffer
      - .offset:         40
        .size:           8
        .value_kind:     by_value
      - .offset:         48
        .size:           8
        .value_kind:     by_value
      - .offset:         56
        .size:           8
        .value_kind:     by_value
      - .address_space:  global
        .offset:         64
        .size:           8
        .value_kind:     global_buffer
      - .offset:         72
        .size:           8
        .value_kind:     by_value
      - .offset:         80
        .size:           8
        .value_kind:     by_value
      - .offset:         88
        .size:           8
        .value_kind:     by_value
      - .address_space:  global
        .offset:         96
        .size:           8
        .value_kind:     global_buffer
      - .offset:         104
        .size:           8
        .value_kind:     by_value
      - .offset:         112
        .size:           8
        .value_kind:     by_value
      - .offset:         120
        .size:           8
        .value_kind:     by_value
      - .offset:         128
        .size:           4
        .value_kind:     by_value
      - .offset:         136
        .size:           4
        .value_kind:     hidden_block_count_x
      - .offset:         140
        .size:           4
        .value_kind:     hidden_block_count_y
      - .offset:         144
        .size:           4
        .value_kind:     hidden_block_count_z
      - .offset:         148
        .size:           2
        .value_kind:     hidden_group_size_x
      - .offset:         150
        .size:           2
        .value_kind:     hidden_group_size_y
      - .offset:         152
        .size:           2
        .value_kind:     hidden_group_size_z
      - .offset:         154
        .size:           2
        .value_kind:     hidden_remainder_x
      - .offset:         156
        .size:           2
        .value_kind:     hidden_remainder_y
      - .offset:         158
        .size:           2
        .value_kind:     hidden_remainder_z
      - .offset:         176
        .size:           8
        .value_kind:     hidden_global_offset_x
      - .offset:         184
        .size:           8
        .value_kind:     hidden_global_offset_y
      - .offset:         192
        .size:           8
        .value_kind:     hidden_global_offset_z
      - .offset:         200
        .size:           2
        .value_kind:     hidden_grid_dims
    .group_segment_fixed_size: 32768
    .kernarg_segment_align: 8
    .kernarg_segment_size: 392
    .language:       OpenCL C
    .language_version:
      - 2
      - 0
    .max_flat_workgroup_size: 1024
    .name:           _ZL24rocblas_symm_hemm_kernelILb1ELb1ELi32E19rocblas_complex_numIdEPKPKS1_PKPS1_EvbiiT2_T3_lllSA_lllT4_llli
    .private_segment_fixed_size: 0
    .sgpr_count:     45
    .sgpr_spill_count: 0
    .symbol:         _ZL24rocblas_symm_hemm_kernelILb1ELb1ELi32E19rocblas_complex_numIdEPKPKS1_PKPS1_EvbiiT2_T3_lllSA_lllT4_llli.kd
    .uniform_work_group_size: 1
    .uses_dynamic_stack: false
    .vgpr_count:     62
    .vgpr_spill_count: 0
    .wavefront_size: 32
amdhsa.target:   amdgcn-amd-amdhsa--gfx1250
amdhsa.version:
  - 1
  - 2
...

	.end_amdgpu_metadata
